;; amdgpu-corpus repo=ROCm/rocFFT kind=compiled arch=gfx950 opt=O3
	.text
	.amdgcn_target "amdgcn-amd-amdhsa--gfx950"
	.amdhsa_code_object_version 6
	.protected	bluestein_single_back_len1575_dim1_dp_op_CI_CI ; -- Begin function bluestein_single_back_len1575_dim1_dp_op_CI_CI
	.globl	bluestein_single_back_len1575_dim1_dp_op_CI_CI
	.p2align	8
	.type	bluestein_single_back_len1575_dim1_dp_op_CI_CI,@function
bluestein_single_back_len1575_dim1_dp_op_CI_CI: ; @bluestein_single_back_len1575_dim1_dp_op_CI_CI
; %bb.0:
	s_load_dwordx4 s[8:11], s[0:1], 0x28
	v_mul_u32_u24_e32 v1, 0x411, v0
	v_mov_b32_e32 v149, 0
	v_add_u32_sdwa v6, s2, v1 dst_sel:DWORD dst_unused:UNUSED_PAD src0_sel:DWORD src1_sel:WORD_1
	v_mov_b32_e32 v7, v149
	s_waitcnt lgkmcnt(0)
	v_cmp_gt_u64_e32 vcc, s[8:9], v[6:7]
	s_and_saveexec_b64 s[2:3], vcc
	s_cbranch_execz .LBB0_31
; %bb.1:
	s_load_dwordx4 s[4:7], s[0:1], 0x18
	s_load_dwordx2 s[14:15], s[0:1], 0x0
	v_mov_b32_e32 v2, s10
	v_mov_b32_e32 v3, s11
	;; [unrolled: 1-line block ×3, first 2 shown]
	s_waitcnt lgkmcnt(0)
	s_load_dwordx4 s[8:11], s[4:5], 0x0
	v_mul_lo_u16_sdwa v1, v1, v4 dst_sel:DWORD dst_unused:UNUSED_PAD src0_sel:WORD_1 src1_sel:DWORD
	v_sub_u16_e32 v148, v0, v1
	v_accvgpr_write_b32 a56, v6
	v_lshlrev_b32_e32 v128, 4, v148
	s_waitcnt lgkmcnt(0)
	v_mad_u64_u32 v[0:1], s[2:3], s10, v6, 0
	v_mov_b32_e32 v4, v1
	v_mad_u64_u32 v[4:5], s[2:3], s11, v6, v[4:5]
	v_mov_b32_e32 v1, v4
	v_mad_u64_u32 v[4:5], s[2:3], s8, v148, 0
	v_mov_b32_e32 v6, v5
	v_mad_u64_u32 v[6:7], s[2:3], s9, v148, v[6:7]
	v_mov_b32_e32 v129, v149
	v_mov_b32_e32 v5, v6
	v_lshl_add_u64 v[0:1], v[0:1], 4, v[2:3]
	v_lshl_add_u64 v[56:57], s[14:15], 0, v[128:129]
	s_mul_i32 s2, s9, 0x20d
	s_mul_hi_u32 s3, s8, 0x20d
	s_movk_i32 s4, 0x2000
	v_lshl_add_u64 v[0:1], v[4:5], 4, v[0:1]
	s_add_i32 s3, s3, s2
	s_mul_i32 s2, s8, 0x20d
	v_add_co_u32_e32 v4, vcc, s4, v56
	global_load_dwordx4 v[62:65], v128, s[14:15]
	s_lshl_b64 s[2:3], s[2:3], 4
	v_addc_co_u32_e32 v5, vcc, 0, v57, vcc
	s_movk_i32 s4, 0x4000
	s_mul_hi_u32 s5, s8, 0xfffffc25
	v_lshl_add_u64 v[2:3], v[0:1], 0, s[2:3]
	global_load_dwordx4 v[36:39], v[0:1], off
	global_load_dwordx4 v[28:31], v[2:3], off
	global_load_dwordx4 v[58:61], v[4:5], off offset:208
	v_add_co_u32_e32 v48, vcc, s4, v56
	s_mul_i32 s4, s9, 0xfffffc25
	s_sub_i32 s5, s5, s8
	v_lshl_add_u64 v[0:1], v[2:3], 0, s[2:3]
	v_addc_co_u32_e32 v49, vcc, 0, v57, vcc
	global_load_dwordx4 v[66:69], v[48:49], off offset:416
	s_add_i32 s17, s5, s4
	s_mul_i32 s16, s8, 0xfffffc25
	global_load_dwordx4 v[40:43], v[0:1], off
	s_lshl_b64 s[4:5], s[16:17], 4
	v_lshl_add_u64 v[0:1], v[0:1], 0, s[4:5]
	global_load_dwordx4 v[70:73], v128, s[14:15] offset:1008
	global_load_dwordx4 v[44:47], v[0:1], off
	global_load_dwordx4 v[98:101], v[4:5], off offset:1216
	v_lshl_add_u64 v[0:1], v[0:1], 0, s[2:3]
	global_load_dwordx4 v[24:27], v[0:1], off
	global_load_dwordx4 v[114:117], v[48:49], off offset:1424
	v_lshl_add_u64 v[6:7], v[0:1], 0, s[2:3]
	global_load_dwordx4 v[0:3], v[6:7], off
	s_load_dwordx2 s[12:13], s[0:1], 0x38
	s_load_dwordx4 s[8:11], s[6:7], 0x0
	global_load_dwordx4 v[78:81], v128, s[14:15] offset:2016
	global_load_dwordx4 v[82:85], v128, s[14:15] offset:3024
	global_load_dwordx4 v[122:125], v[4:5], off offset:2224
	global_load_dwordx4 v[110:113], v[4:5], off offset:3232
	v_lshl_add_u64 v[4:5], v[6:7], 0, s[4:5]
	global_load_dwordx4 v[32:35], v[4:5], off
	v_lshl_add_u64 v[4:5], v[4:5], 0, s[2:3]
	global_load_dwordx4 v[16:19], v[4:5], off
	;; [unrolled: 2-line block ×3, first 2 shown]
	v_lshl_add_u64 v[4:5], v[4:5], 0, s[4:5]
	global_load_dwordx4 v[150:153], v[48:49], off offset:2432
	global_load_dwordx4 v[134:137], v[48:49], off offset:3440
	global_load_dwordx4 v[8:11], v[4:5], off
	v_lshl_add_u64 v[20:21], v[4:5], 0, s[2:3]
	global_load_dwordx4 v[4:7], v[20:21], off
	v_lshl_add_u64 v[54:55], v[20:21], 0, s[2:3]
	global_load_dwordx4 v[20:23], v[54:55], off
	s_movk_i32 s6, 0x3000
	v_accvgpr_write_b32 a0, v56
	v_accvgpr_write_b32 a1, v57
	s_waitcnt vmcnt(23)
	scratch_store_dwordx4 off, v[62:65], off offset:280 ; 16-byte Folded Spill
	s_waitcnt vmcnt(23)
	v_mul_f64 v[50:51], v[38:39], v[64:65]
	v_mul_f64 v[52:53], v[36:37], v[64:65]
	v_fmac_f64_e32 v[50:51], v[36:37], v[62:63]
	v_fma_f64 v[52:53], v[38:39], v[62:63], -v[52:53]
	s_waitcnt vmcnt(21)
	v_mul_f64 v[36:37], v[30:31], v[60:61]
	v_mul_f64 v[38:39], v[28:29], v[60:61]
	v_fmac_f64_e32 v[36:37], v[28:29], v[58:59]
	v_fma_f64 v[38:39], v[30:31], v[58:59], -v[38:39]
	ds_write_b128 v128, v[36:39] offset:8400
	ds_write_b128 v128, v[50:53]
	scratch_store_dwordx4 off, v[58:61], off offset:200 ; 16-byte Folded Spill
	s_waitcnt vmcnt(21)
	scratch_store_dwordx4 off, v[66:69], off offset:168 ; 16-byte Folded Spill
	s_waitcnt vmcnt(21)
	v_mul_f64 v[28:29], v[42:43], v[68:69]
	v_mul_f64 v[30:31], v[40:41], v[68:69]
	s_waitcnt vmcnt(19)
	v_mul_f64 v[36:37], v[46:47], v[72:73]
	v_mul_f64 v[38:39], v[44:45], v[72:73]
	v_fmac_f64_e32 v[28:29], v[40:41], v[66:67]
	v_fma_f64 v[30:31], v[42:43], v[66:67], -v[30:31]
	v_fmac_f64_e32 v[36:37], v[44:45], v[70:71]
	v_fma_f64 v[38:39], v[46:47], v[70:71], -v[38:39]
	ds_write_b128 v128, v[28:31] offset:16800
	scratch_store_dwordx4 off, v[70:73], off offset:152 ; 16-byte Folded Spill
	ds_write_b128 v128, v[36:39] offset:1008
	v_lshl_add_u64 v[36:37], v[54:55], 0, s[4:5]
	global_load_dwordx4 v[28:31], v[36:37], off
	global_load_dwordx4 v[86:89], v128, s[14:15] offset:4032
	v_add_co_u32_e32 v70, vcc, s6, v56
	v_lshl_add_u64 v[40:41], v[36:37], 0, s[2:3]
	s_nop 0
	v_addc_co_u32_e32 v71, vcc, 0, v57, vcc
	s_movk_i32 s6, 0x5000
	global_load_dwordx4 v[36:39], v[40:41], off
	global_load_dwordx4 v[90:93], v[70:71], off offset:144
	v_add_co_u32_e32 v72, vcc, s6, v56
	v_lshl_add_u64 v[44:45], v[40:41], 0, s[2:3]
	s_nop 0
	v_addc_co_u32_e32 v73, vcc, 0, v57, vcc
	global_load_dwordx4 v[94:97], v[72:73], off offset:352
	s_movk_i32 s6, 0x1000
	global_load_dwordx4 v[40:43], v[44:45], off
	v_add_co_u32_e32 v74, vcc, s6, v56
	v_lshl_add_u64 v[52:53], v[44:45], 0, s[4:5]
	s_nop 0
	v_addc_co_u32_e32 v75, vcc, 0, v57, vcc
	global_load_dwordx4 v[44:47], v[52:53], off
	global_load_dwordx4 v[118:121], v[74:75], off offset:944
	v_lshl_add_u64 v[58:59], v[52:53], 0, s[2:3]
	s_waitcnt vmcnt(26)
	v_mul_f64 v[50:51], v[26:27], v[100:101]
	global_load_dwordx4 v[54:57], v[58:59], off
	global_load_dwordx4 v[130:133], v[70:71], off offset:1152
	v_fmac_f64_e32 v[50:51], v[24:25], v[98:99]
	v_mul_f64 v[24:25], v[24:25], v[100:101]
	scratch_store_dwordx4 off, v[98:101], off offset:312 ; 16-byte Folded Spill
	v_lshl_add_u64 v[58:59], v[58:59], 0, s[2:3]
	v_fma_f64 v[52:53], v[26:27], v[98:99], -v[24:25]
	global_load_dwordx4 v[24:27], v[58:59], off
	global_load_dwordx4 v[142:145], v[72:73], off offset:1360
	ds_write_b128 v128, v[50:53] offset:9408
	v_lshl_add_u64 v[52:53], v[58:59], 0, s[4:5]
	s_waitcnt vmcnt(29)
	v_mul_f64 v[50:51], v[2:3], v[116:117]
	global_load_dwordx4 v[58:61], v[52:53], off
	global_load_dwordx4 v[106:109], v[74:75], off offset:1952
	v_fmac_f64_e32 v[50:51], v[0:1], v[114:115]
	v_mul_f64 v[0:1], v[0:1], v[116:117]
	v_lshl_add_u64 v[66:67], v[52:53], 0, s[2:3]
	global_load_dwordx4 v[62:65], v[66:67], off
	global_load_dwordx4 v[102:105], v[70:71], off offset:2160
	v_fma_f64 v[52:53], v[2:3], v[114:115], -v[0:1]
	ds_write_b128 v128, v[50:53] offset:17808
	v_lshl_add_u64 v[2:3], v[66:67], 0, s[2:3]
	global_load_dwordx4 v[50:53], v[2:3], off
	global_load_dwordx4 v[98:101], v[72:73], off offset:2368
	v_accvgpr_write_b32 a70, v114
	v_lshl_add_u64 v[76:77], v[2:3], 0, s[4:5]
	v_accvgpr_write_b32 a71, v115
	v_accvgpr_write_b32 a72, v116
	;; [unrolled: 1-line block ×3, first 2 shown]
	global_load_dwordx4 v[66:69], v[76:77], off
	global_load_dwordx4 v[114:117], v[74:75], off offset:2960
	s_waitcnt vmcnt(32)
	v_mul_f64 v[0:1], v[34:35], v[80:81]
	v_mul_f64 v[2:3], v[32:33], v[80:81]
	v_accvgpr_write_b32 a16, v78
	v_lshl_add_u64 v[74:75], v[76:77], 0, s[2:3]
	v_fmac_f64_e32 v[0:1], v[32:33], v[78:79]
	v_accvgpr_write_b32 a17, v79
	v_accvgpr_write_b32 a18, v80
	;; [unrolled: 1-line block ×3, first 2 shown]
	v_fma_f64 v[2:3], v[34:35], v[78:79], -v[2:3]
	global_load_dwordx4 v[32:35], v[74:75], off
	global_load_dwordx4 v[78:81], v[70:71], off offset:3168
	ds_write_b128 v128, v[0:3] offset:2016
	v_lshl_add_u64 v[0:1], v[74:75], 0, s[2:3]
	global_load_dwordx4 v[74:77], v[0:1], off
	global_load_dwordx4 v[138:141], v[72:73], off offset:3376
	s_waitcnt vmcnt(35)
	v_mul_f64 v[2:3], v[16:17], v[124:125]
	v_fma_f64 v[72:73], v[18:19], v[122:123], -v[2:3]
	s_waitcnt vmcnt(33)
	v_mul_f64 v[2:3], v[12:13], v[152:153]
	v_mul_f64 v[70:71], v[18:19], v[124:125]
	v_fma_f64 v[18:19], v[14:15], v[150:151], -v[2:3]
	s_waitcnt vmcnt(31)
	v_mul_f64 v[2:3], v[8:9], v[84:85]
	v_fmac_f64_e32 v[70:71], v[16:17], v[122:123]
	v_mul_f64 v[16:17], v[14:15], v[152:153]
	v_fma_f64 v[14:15], v[10:11], v[82:83], -v[2:3]
	s_waitcnt vmcnt(30)
	v_mul_f64 v[2:3], v[6:7], v[112:113]
	v_fmac_f64_e32 v[2:3], v[4:5], v[110:111]
	v_mul_f64 v[4:5], v[4:5], v[112:113]
	v_fma_f64 v[4:5], v[6:7], v[110:111], -v[4:5]
	ds_write_b128 v128, v[2:5] offset:11424
	s_waitcnt vmcnt(29)
	v_mul_f64 v[2:3], v[22:23], v[136:137]
	v_mul_f64 v[4:5], v[20:21], v[136:137]
	v_fmac_f64_e32 v[2:3], v[20:21], v[134:135]
	v_fma_f64 v[4:5], v[22:23], v[134:135], -v[4:5]
	ds_write_b128 v128, v[2:5] offset:19824
	s_waitcnt vmcnt(23)
	v_mul_f64 v[2:3], v[30:31], v[88:89]
	v_mul_f64 v[4:5], v[28:29], v[88:89]
	v_fmac_f64_e32 v[2:3], v[28:29], v[86:87]
	v_fma_f64 v[4:5], v[30:31], v[86:87], -v[4:5]
	ds_write_b128 v128, v[2:5] offset:4032
	s_waitcnt vmcnt(21)
	v_mul_f64 v[2:3], v[38:39], v[92:93]
	v_mul_f64 v[4:5], v[36:37], v[92:93]
	v_fmac_f64_e32 v[2:3], v[36:37], v[90:91]
	v_fma_f64 v[4:5], v[38:39], v[90:91], -v[4:5]
	ds_write_b128 v128, v[2:5] offset:12432
	v_accvgpr_write_b32 a74, v122
	v_fmac_f64_e32 v[16:17], v[12:13], v[150:151]
	v_accvgpr_write_b32 a98, v150
	s_waitcnt vmcnt(19)
	v_mul_f64 v[2:3], v[42:43], v[96:97]
	v_mul_f64 v[4:5], v[40:41], v[96:97]
	v_fmac_f64_e32 v[2:3], v[40:41], v[94:95]
	v_fma_f64 v[4:5], v[42:43], v[94:95], -v[4:5]
	ds_write_b128 v128, v[2:5] offset:20832
	v_mul_f64 v[12:13], v[10:11], v[84:85]
	v_accvgpr_write_b32 a75, v123
	s_waitcnt vmcnt(17)
	v_mul_f64 v[2:3], v[46:47], v[120:121]
	v_mul_f64 v[4:5], v[44:45], v[120:121]
	v_fmac_f64_e32 v[2:3], v[44:45], v[118:119]
	v_fma_f64 v[4:5], v[46:47], v[118:119], -v[4:5]
	ds_write_b128 v128, v[2:5] offset:5040
	s_waitcnt vmcnt(15)
	v_mul_f64 v[2:3], v[56:57], v[132:133]
	v_mul_f64 v[4:5], v[54:55], v[132:133]
	v_fmac_f64_e32 v[2:3], v[54:55], v[130:131]
	v_fma_f64 v[4:5], v[56:57], v[130:131], -v[4:5]
	ds_write_b128 v128, v[2:5] offset:13440
	;; [unrolled: 6-line block ×7, first 2 shown]
	v_accvgpr_write_b32 a76, v124
	v_accvgpr_write_b32 a77, v125
	s_waitcnt vmcnt(2)
	v_mul_f64 v[2:3], v[34:35], v[80:81]
	v_mul_f64 v[4:5], v[32:33], v[80:81]
	v_fmac_f64_e32 v[2:3], v[32:33], v[78:79]
	v_fma_f64 v[4:5], v[34:35], v[78:79], -v[4:5]
	ds_write_b128 v128, v[2:5] offset:15456
	s_waitcnt vmcnt(0)
	v_mul_f64 v[2:3], v[76:77], v[140:141]
	v_mul_f64 v[4:5], v[74:75], v[140:141]
	v_accvgpr_write_b32 a99, v151
	v_accvgpr_write_b32 a100, v152
	;; [unrolled: 1-line block ×3, first 2 shown]
	v_fmac_f64_e32 v[12:13], v[8:9], v[82:83]
	v_fmac_f64_e32 v[2:3], v[74:75], v[138:139]
	v_fma_f64 v[4:5], v[76:77], v[138:139], -v[4:5]
	v_cmp_gt_u16_e64 s[4:5], 21, v148
	ds_write_b128 v128, v[70:73] offset:10416
	ds_write_b128 v128, v[16:19] offset:18816
	scratch_store_dwordx4 off, v[82:85], off offset:360 ; 16-byte Folded Spill
	ds_write_b128 v128, v[12:15] offset:3024
	scratch_store_dwordx4 off, v[110:113], off offset:344 ; 16-byte Folded Spill
	scratch_store_dwordx4 off, v[134:137], off offset:328 ; 16-byte Folded Spill
	;; [unrolled: 1-line block ×14, first 2 shown]
	ds_write_b128 v128, v[2:5] offset:23856
	s_and_saveexec_b64 s[6:7], s[4:5]
	s_cbranch_execz .LBB0_3
; %bb.2:
	v_accvgpr_read_b32 v19, a1
	v_lshl_add_u64 v[8:9], s[16:17], 4, v[0:1]
	v_accvgpr_read_b32 v18, a0
	v_add_co_u32_e32 v4, vcc, 0x1000, v18
	v_lshl_add_u64 v[16:17], v[8:9], 0, s[2:3]
	s_nop 0
	v_addc_co_u32_e32 v5, vcc, 0, v19, vcc
	v_lshl_add_u64 v[20:21], v[16:17], 0, s[2:3]
	s_movk_i32 s2, 0x6000
	global_load_dwordx4 v[0:3], v[8:9], off
	s_nop 0
	global_load_dwordx4 v[4:7], v[4:5], off offset:3968
	s_nop 0
	global_load_dwordx4 v[8:11], v[16:17], off
	global_load_dwordx4 v[12:15], v[48:49], off offset:80
	v_add_co_u32_e32 v16, vcc, s2, v18
	s_waitcnt vmcnt(2)
	v_mul_f64 v[24:25], v[2:3], v[6:7]
	v_addc_co_u32_e32 v17, vcc, 0, v19, vcc
	global_load_dwordx4 v[16:19], v[16:17], off offset:288
	s_nop 0
	global_load_dwordx4 v[20:23], v[20:21], off
	v_mul_f64 v[26:27], v[0:1], v[6:7]
	v_fmac_f64_e32 v[24:25], v[0:1], v[4:5]
	v_fma_f64 v[26:27], v[2:3], v[4:5], -v[26:27]
	s_waitcnt vmcnt(2)
	v_mul_f64 v[6:7], v[10:11], v[14:15]
	v_mul_f64 v[14:15], v[8:9], v[14:15]
	v_fmac_f64_e32 v[6:7], v[8:9], v[12:13]
	v_fma_f64 v[8:9], v[10:11], v[12:13], -v[14:15]
	ds_write_b128 v128, v[24:27] offset:8064
	ds_write_b128 v128, v[6:9] offset:16464
	s_waitcnt vmcnt(0)
	v_mul_f64 v[0:1], v[22:23], v[18:19]
	v_mul_f64 v[2:3], v[20:21], v[18:19]
	v_fmac_f64_e32 v[0:1], v[20:21], v[16:17]
	v_fma_f64 v[2:3], v[22:23], v[16:17], -v[2:3]
	ds_write_b128 v128, v[0:3] offset:24864
.LBB0_3:
	s_or_b64 exec, exec, s[6:7]
	s_waitcnt lgkmcnt(0)
	; wave barrier
	s_waitcnt lgkmcnt(0)
	ds_read_b128 v[40:43], v128
	ds_read_b128 v[36:39], v128 offset:1008
	ds_read_b128 v[100:103], v128 offset:8400
	;; [unrolled: 1-line block ×23, first 2 shown]
                                        ; implicit-def: $vgpr0_vgpr1
                                        ; implicit-def: $vgpr44_vgpr45
                                        ; implicit-def: $vgpr48_vgpr49
	s_and_saveexec_b64 s[2:3], s[4:5]
	s_cbranch_execz .LBB0_5
; %bb.4:
	ds_read_b128 v[0:3], v128 offset:8064
	ds_read_b128 v[44:47], v128 offset:16464
	;; [unrolled: 1-line block ×3, first 2 shown]
.LBB0_5:
	s_or_b64 exec, exec, s[2:3]
	s_mov_b64 s[2:3], 0x7e
	v_lshl_add_u64 v[136:137], v[148:149], 0, s[2:3]
	s_mov_b64 s[2:3], 0xbd
	v_lshl_add_u64 v[134:135], v[148:149], 0, s[2:3]
	;; [unrolled: 2-line block ×7, first 2 shown]
	s_waitcnt lgkmcnt(14)
	v_add_f64 v[110:111], v[100:101], v[104:105]
	s_mov_b32 s2, 0xe8584caa
	v_add_f64 v[108:109], v[40:41], v[100:101]
	v_fmac_f64_e32 v[40:41], -0.5, v[110:111]
	v_add_f64 v[110:111], v[102:103], -v[106:107]
	s_mov_b32 s3, 0x3febb67a
	s_mov_b32 s7, 0xbfebb67a
	;; [unrolled: 1-line block ×3, first 2 shown]
	v_fma_f64 v[112:113], s[2:3], v[110:111], v[40:41]
	v_fmac_f64_e32 v[40:41], s[6:7], v[110:111]
	v_add_f64 v[110:111], v[42:43], v[102:103]
	v_add_f64 v[102:103], v[102:103], v[106:107]
	v_fmac_f64_e32 v[42:43], -0.5, v[102:103]
	v_add_f64 v[100:101], v[100:101], -v[104:105]
	v_add_f64 v[102:103], v[92:93], v[96:97]
	v_fma_f64 v[114:115], s[6:7], v[100:101], v[42:43]
	v_fmac_f64_e32 v[42:43], s[2:3], v[100:101]
	v_add_f64 v[100:101], v[36:37], v[92:93]
	v_fmac_f64_e32 v[36:37], -0.5, v[102:103]
	v_add_f64 v[102:103], v[94:95], -v[98:99]
	v_add_f64 v[108:109], v[108:109], v[104:105]
	v_fma_f64 v[104:105], s[2:3], v[102:103], v[36:37]
	v_fmac_f64_e32 v[36:37], s[6:7], v[102:103]
	v_add_f64 v[102:103], v[38:39], v[94:95]
	v_add_f64 v[94:95], v[94:95], v[98:99]
	v_fmac_f64_e32 v[38:39], -0.5, v[94:95]
	v_add_f64 v[92:93], v[92:93], -v[96:97]
	s_waitcnt lgkmcnt(13)
	v_add_f64 v[94:95], v[84:85], v[88:89]
	v_add_f64 v[110:111], v[110:111], v[106:107]
	v_fma_f64 v[106:107], s[6:7], v[92:93], v[38:39]
	v_fmac_f64_e32 v[38:39], s[2:3], v[92:93]
	v_add_f64 v[92:93], v[32:33], v[84:85]
	v_fmac_f64_e32 v[32:33], -0.5, v[94:95]
	v_add_f64 v[94:95], v[86:87], -v[90:91]
	v_add_f64 v[100:101], v[100:101], v[96:97]
	v_fma_f64 v[96:97], s[2:3], v[94:95], v[32:33]
	v_fmac_f64_e32 v[32:33], s[6:7], v[94:95]
	v_add_f64 v[94:95], v[34:35], v[86:87]
	v_add_f64 v[86:87], v[86:87], v[90:91]
	v_fmac_f64_e32 v[34:35], -0.5, v[86:87]
	v_add_f64 v[84:85], v[84:85], -v[88:89]
	s_waitcnt lgkmcnt(12)
	v_add_f64 v[86:87], v[76:77], v[80:81]
	;; [unrolled: 15-line block ×6, first 2 shown]
	v_add_f64 v[70:71], v[70:71], v[66:67]
	v_fma_f64 v[66:67], s[6:7], v[52:53], v[18:19]
	v_fmac_f64_e32 v[18:19], s[2:3], v[52:53]
	v_add_f64 v[52:53], v[12:13], v[4:5]
	v_fmac_f64_e32 v[12:13], -0.5, v[54:55]
	v_add_f64 v[54:55], v[6:7], -v[10:11]
	v_add_f64 v[60:61], v[60:61], v[56:57]
	v_fma_f64 v[56:57], s[2:3], v[54:55], v[12:13]
	v_fmac_f64_e32 v[12:13], s[6:7], v[54:55]
	v_add_f64 v[54:55], v[14:15], v[6:7]
	v_add_f64 v[6:7], v[6:7], v[10:11]
	v_fmac_f64_e32 v[14:15], -0.5, v[6:7]
	v_add_f64 v[4:5], v[4:5], -v[8:9]
	v_add_f64 v[62:63], v[62:63], v[58:59]
	v_fma_f64 v[58:59], s[6:7], v[4:5], v[14:15]
	v_fmac_f64_e32 v[14:15], s[2:3], v[4:5]
	v_add_f64 v[4:5], v[0:1], v[44:45]
	v_add_f64 v[52:53], v[52:53], v[8:9]
	;; [unrolled: 1-line block ×4, first 2 shown]
	v_fmac_f64_e32 v[0:1], -0.5, v[4:5]
	v_add_f64 v[6:7], v[46:47], -v[50:51]
	v_fma_f64 v[4:5], s[2:3], v[6:7], v[0:1]
	v_fmac_f64_e32 v[0:1], s[6:7], v[6:7]
	v_add_f64 v[6:7], v[2:3], v[46:47]
	v_add_f64 v[54:55], v[54:55], v[10:11]
	;; [unrolled: 1-line block ×4, first 2 shown]
	v_fmac_f64_e32 v[2:3], -0.5, v[6:7]
	v_add_f64 v[44:45], v[44:45], -v[48:49]
	v_fma_f64 v[6:7], s[6:7], v[44:45], v[2:3]
	v_fmac_f64_e32 v[2:3], s[2:3], v[44:45]
	v_mul_lo_u16_e32 v44, 3, v148
	v_lshl_add_u64 v[138:139], v[148:149], 0, 63
	v_lshlrev_b32_e32 v44, 4, v44
	s_waitcnt lgkmcnt(0)
	; wave barrier
	ds_write_b128 v44, v[108:111]
	ds_write_b128 v44, v[112:115] offset:16
	ds_write_b128 v44, v[40:43] offset:32
	v_mul_u32_u24_e32 v40, 3, v138
	v_lshlrev_b32_e32 v40, 4, v40
	scratch_store_dword off, v44, off       ; 4-byte Folded Spill
	ds_write_b128 v40, v[100:103]
	ds_write_b128 v40, v[104:107] offset:16
	ds_write_b128 v40, v[36:39] offset:32
	v_mul_u32_u24_e32 v36, 3, v136
	v_lshlrev_b32_e32 v36, 4, v36
	scratch_store_dword off, v40, off offset:4 ; 4-byte Folded Spill
	ds_write_b128 v36, v[92:95]
	ds_write_b128 v36, v[96:99] offset:16
	ds_write_b128 v36, v[32:35] offset:32
	v_mul_u32_u24_e32 v32, 3, v134
	v_lshlrev_b32_e32 v32, 4, v32
	scratch_store_dword off, v36, off offset:8 ; 4-byte Folded Spill
	;; [unrolled: 6-line block ×3, first 2 shown]
	ds_write_b128 v28, v[76:79]
	ds_write_b128 v28, v[80:83] offset:16
	ds_write_b128 v28, v[24:27] offset:32
	v_mul_u32_u24_e32 v24, 3, v122
	v_lshlrev_b32_e32 v24, 4, v24
	s_load_dwordx2 s[0:1], s[0:1], 0x8
	scratch_store_dword off, v28, off offset:16 ; 4-byte Folded Spill
	ds_write_b128 v24, v[68:71]
	ds_write_b128 v24, v[72:75] offset:16
	ds_write_b128 v24, v[20:23] offset:32
	v_mul_u32_u24_e32 v20, 3, v120
	v_lshlrev_b32_e32 v20, 4, v20
	scratch_store_dword off, v24, off offset:20 ; 4-byte Folded Spill
	ds_write_b128 v20, v[60:63]
	ds_write_b128 v20, v[64:67] offset:16
	ds_write_b128 v20, v[16:19] offset:32
	v_mul_u32_u24_e32 v16, 3, v118
	v_lshlrev_b32_e32 v16, 4, v16
	scratch_store_dword off, v20, off offset:24 ; 4-byte Folded Spill
	ds_write_b128 v16, v[52:55]
	ds_write_b128 v16, v[56:59] offset:16
	ds_write_b128 v16, v[12:15] offset:32
	v_mul_u32_u24_e32 v12, 3, v116
	scratch_store_dword off, v16, off offset:28 ; 4-byte Folded Spill
	scratch_store_dword off, v12, off offset:384 ; 4-byte Folded Spill
	s_and_saveexec_b64 s[2:3], s[4:5]
	s_cbranch_execz .LBB0_7
; %bb.6:
	v_mul_u32_u24_e32 v12, 3, v116
	v_lshlrev_b32_e32 v12, 4, v12
	ds_write_b128 v12, v[8:11]
	ds_write_b128 v12, v[4:7] offset:16
	ds_write_b128 v12, v[0:3] offset:32
.LBB0_7:
	s_or_b64 exec, exec, s[2:3]
	s_waitcnt lgkmcnt(0)
	; wave barrier
	s_waitcnt lgkmcnt(0)
	ds_read_b128 v[40:43], v128
	ds_read_b128 v[36:39], v128 offset:1008
	ds_read_b128 v[104:107], v128 offset:8400
	;; [unrolled: 1-line block ×23, first 2 shown]
	s_and_saveexec_b64 s[2:3], s[4:5]
	s_cbranch_execz .LBB0_9
; %bb.8:
	ds_read_b128 v[8:11], v128 offset:8064
	ds_read_b128 v[4:7], v128 offset:16464
	;; [unrolled: 1-line block ×3, first 2 shown]
.LBB0_9:
	s_or_b64 exec, exec, s[2:3]
	s_movk_i32 s2, 0xab
	v_mul_lo_u16_sdwa v108, v148, s2 dst_sel:DWORD dst_unused:UNUSED_PAD src0_sel:BYTE_0 src1_sel:DWORD
	v_lshrrev_b16_e32 v124, 9, v108
	v_mul_lo_u16_e32 v108, 3, v124
	v_sub_u16_e32 v108, v148, v108
	v_and_b32_e32 v125, 0xff, v108
	v_lshlrev_b32_e32 v108, 5, v125
	global_load_dwordx4 v[110:113], v108, s[0:1] offset:16
	global_load_dwordx4 v[140:143], v108, s[0:1]
	s_waitcnt vmcnt(1)
	v_accvgpr_write_b32 a110, v110
	s_waitcnt vmcnt(0) lgkmcnt(14)
	v_mul_f64 v[108:109], v[106:107], v[142:143]
	v_fma_f64 v[108:109], v[104:105], v[140:141], -v[108:109]
	v_mul_f64 v[104:105], v[104:105], v[142:143]
	v_fmac_f64_e32 v[104:105], v[106:107], v[140:141]
	v_mul_f64 v[106:107], v[102:103], v[112:113]
	v_fma_f64 v[106:107], v[100:101], v[110:111], -v[106:107]
	v_mul_f64 v[100:101], v[100:101], v[112:113]
	v_fmac_f64_e32 v[100:101], v[102:103], v[110:111]
	v_mul_lo_u16_sdwa v102, v138, s2 dst_sel:DWORD dst_unused:UNUSED_PAD src0_sel:BYTE_0 src1_sel:DWORD
	v_lshrrev_b16_e32 v126, 9, v102
	v_mul_lo_u16_e32 v102, 3, v126
	v_sub_u16_e32 v102, v138, v102
	v_and_b32_e32 v127, 0xff, v102
	v_accvgpr_write_b32 a114, v140
	v_lshlrev_b32_e32 v102, 5, v127
	v_accvgpr_write_b32 a115, v141
	v_accvgpr_write_b32 a116, v142
	;; [unrolled: 1-line block ×6, first 2 shown]
	global_load_dwordx4 v[110:113], v102, s[0:1] offset:16
	global_load_dwordx4 v[140:143], v102, s[0:1]
	s_waitcnt vmcnt(1)
	v_accvgpr_write_b32 a121, v113
	s_waitcnt vmcnt(0)
	v_mul_f64 v[102:103], v[98:99], v[142:143]
	v_fma_f64 v[102:103], v[96:97], v[140:141], -v[102:103]
	v_mul_f64 v[96:97], v[96:97], v[142:143]
	v_fmac_f64_e32 v[96:97], v[98:99], v[140:141]
	v_mul_f64 v[98:99], v[94:95], v[112:113]
	v_fma_f64 v[98:99], v[92:93], v[110:111], -v[98:99]
	v_mul_f64 v[92:93], v[92:93], v[112:113]
	v_fmac_f64_e32 v[92:93], v[94:95], v[110:111]
	v_mul_lo_u16_sdwa v94, v136, s2 dst_sel:DWORD dst_unused:UNUSED_PAD src0_sel:BYTE_0 src1_sel:DWORD
	v_lshrrev_b16_e32 v129, 9, v94
	v_mul_lo_u16_e32 v94, 3, v129
	v_sub_u16_e32 v94, v136, v94
	v_and_b32_e32 v130, 0xff, v94
	v_accvgpr_write_b32 a122, v140
	v_lshlrev_b32_e32 v94, 5, v130
	v_accvgpr_write_b32 a123, v141
	v_accvgpr_write_b32 a124, v142
	;; [unrolled: 1-line block ×6, first 2 shown]
	global_load_dwordx4 v[110:113], v94, s[0:1] offset:16
	global_load_dwordx4 v[140:143], v94, s[0:1]
	s_waitcnt vmcnt(1)
	v_accvgpr_write_b32 a129, v113
	s_waitcnt vmcnt(0)
	v_mul_f64 v[94:95], v[90:91], v[142:143]
	v_fma_f64 v[94:95], v[88:89], v[140:141], -v[94:95]
	v_mul_f64 v[88:89], v[88:89], v[142:143]
	v_fmac_f64_e32 v[88:89], v[90:91], v[140:141]
	s_waitcnt lgkmcnt(13)
	v_mul_f64 v[90:91], v[86:87], v[112:113]
	v_fma_f64 v[90:91], v[84:85], v[110:111], -v[90:91]
	v_mul_f64 v[84:85], v[84:85], v[112:113]
	v_fmac_f64_e32 v[84:85], v[86:87], v[110:111]
	v_mul_lo_u16_sdwa v86, v134, s2 dst_sel:DWORD dst_unused:UNUSED_PAD src0_sel:BYTE_0 src1_sel:DWORD
	v_lshrrev_b16_e32 v131, 9, v86
	v_mul_lo_u16_e32 v86, 3, v131
	v_sub_u16_e32 v86, v134, v86
	v_and_b32_e32 v133, 0xff, v86
	v_accvgpr_write_b32 a130, v140
	v_lshlrev_b32_e32 v86, 5, v133
	v_accvgpr_write_b32 a131, v141
	v_accvgpr_write_b32 a132, v142
	;; [unrolled: 1-line block ×6, first 2 shown]
	global_load_dwordx4 v[110:113], v86, s[0:1] offset:16
	global_load_dwordx4 v[140:143], v86, s[0:1]
	s_mov_b32 s2, 0xaaab
	s_waitcnt vmcnt(1)
	v_accvgpr_write_b32 a137, v113
	s_waitcnt vmcnt(0)
	v_mul_f64 v[86:87], v[82:83], v[142:143]
	v_fma_f64 v[86:87], v[80:81], v[140:141], -v[86:87]
	v_mul_f64 v[80:81], v[80:81], v[142:143]
	v_fmac_f64_e32 v[80:81], v[82:83], v[140:141]
	s_waitcnt lgkmcnt(12)
	v_mul_f64 v[82:83], v[78:79], v[112:113]
	v_fma_f64 v[82:83], v[76:77], v[110:111], -v[82:83]
	v_mul_f64 v[76:77], v[76:77], v[112:113]
	v_fmac_f64_e32 v[76:77], v[78:79], v[110:111]
	v_mul_u32_u24_sdwa v78, v132, s2 dst_sel:DWORD dst_unused:UNUSED_PAD src0_sel:WORD_0 src1_sel:DWORD
	v_lshrrev_b32_e32 v135, 17, v78
	v_mul_lo_u16_e32 v78, 3, v135
	v_sub_u16_e32 v137, v132, v78
	v_lshlrev_b16_e32 v78, 1, v137
	v_accvgpr_write_b32 a138, v140
	v_lshlrev_b32_e32 v78, 4, v78
	v_accvgpr_write_b32 a139, v141
	v_accvgpr_write_b32 a140, v142
	;; [unrolled: 1-line block ×6, first 2 shown]
	global_load_dwordx4 v[110:113], v78, s[0:1] offset:16
	global_load_dwordx4 v[140:143], v78, s[0:1]
	s_waitcnt vmcnt(1)
	v_accvgpr_write_b32 a145, v113
	s_waitcnt vmcnt(0) lgkmcnt(9)
	v_mul_f64 v[78:79], v[74:75], v[142:143]
	v_fma_f64 v[78:79], v[72:73], v[140:141], -v[78:79]
	v_mul_f64 v[72:73], v[72:73], v[142:143]
	v_fmac_f64_e32 v[72:73], v[74:75], v[140:141]
	s_waitcnt lgkmcnt(7)
	v_mul_f64 v[74:75], v[70:71], v[112:113]
	v_fma_f64 v[74:75], v[68:69], v[110:111], -v[74:75]
	v_mul_f64 v[68:69], v[68:69], v[112:113]
	v_fmac_f64_e32 v[68:69], v[70:71], v[110:111]
	v_mul_u32_u24_sdwa v70, v122, s2 dst_sel:DWORD dst_unused:UNUSED_PAD src0_sel:WORD_0 src1_sel:DWORD
	v_lshrrev_b32_e32 v139, 17, v70
	v_accvgpr_write_b32 a149, v143
	v_mul_lo_u16_e32 v70, 3, v139
	v_accvgpr_write_b32 a148, v142
	v_accvgpr_write_b32 a147, v141
	;; [unrolled: 1-line block ×3, first 2 shown]
	v_sub_u16_e32 v140, v122, v70
	v_lshlrev_b16_e32 v70, 1, v140
	v_lshlrev_b32_e32 v70, 4, v70
	v_accvgpr_write_b32 a144, v112
	v_accvgpr_write_b32 a143, v111
	;; [unrolled: 1-line block ×3, first 2 shown]
	global_load_dwordx4 v[110:113], v70, s[0:1] offset:16
	global_load_dwordx4 v[142:145], v70, s[0:1]
	s_waitcnt vmcnt(1)
	v_accvgpr_write_b32 a153, v113
	s_waitcnt vmcnt(0)
	v_mul_f64 v[70:71], v[66:67], v[144:145]
	v_fma_f64 v[70:71], v[64:65], v[142:143], -v[70:71]
	v_mul_f64 v[64:65], v[64:65], v[144:145]
	v_fmac_f64_e32 v[64:65], v[66:67], v[142:143]
	s_waitcnt lgkmcnt(6)
	v_mul_f64 v[66:67], v[62:63], v[112:113]
	v_fma_f64 v[66:67], v[60:61], v[110:111], -v[66:67]
	v_mul_f64 v[60:61], v[60:61], v[112:113]
	v_fmac_f64_e32 v[60:61], v[62:63], v[110:111]
	v_mul_u32_u24_sdwa v62, v120, s2 dst_sel:DWORD dst_unused:UNUSED_PAD src0_sel:WORD_0 src1_sel:DWORD
	v_lshrrev_b32_e32 v141, 17, v62
	v_accvgpr_write_b32 a157, v145
	v_mul_lo_u16_e32 v62, 3, v141
	v_accvgpr_write_b32 a156, v144
	v_accvgpr_write_b32 a155, v143
	v_accvgpr_write_b32 a154, v142
	v_sub_u16_e32 v142, v120, v62
	v_lshlrev_b16_e32 v62, 1, v142
	v_lshlrev_b32_e32 v62, 4, v62
	v_accvgpr_write_b32 a152, v112
	v_accvgpr_write_b32 a151, v111
	;; [unrolled: 1-line block ×3, first 2 shown]
	global_load_dwordx4 v[110:113], v62, s[0:1] offset:16
	global_load_dwordx4 v[120:123], v62, s[0:1]
	s_waitcnt vmcnt(1)
	v_accvgpr_write_b32 a161, v113
	s_waitcnt vmcnt(0) lgkmcnt(3)
	v_mul_f64 v[62:63], v[58:59], v[122:123]
	v_fma_f64 v[62:63], v[56:57], v[120:121], -v[62:63]
	v_mul_f64 v[56:57], v[56:57], v[122:123]
	v_fmac_f64_e32 v[56:57], v[58:59], v[120:121]
	s_waitcnt lgkmcnt(1)
	v_mul_f64 v[58:59], v[54:55], v[112:113]
	v_fma_f64 v[58:59], v[52:53], v[110:111], -v[58:59]
	v_mul_f64 v[52:53], v[52:53], v[112:113]
	v_fmac_f64_e32 v[52:53], v[54:55], v[110:111]
	v_mul_u32_u24_sdwa v54, v118, s2 dst_sel:DWORD dst_unused:UNUSED_PAD src0_sel:WORD_0 src1_sel:DWORD
	v_lshrrev_b32_e32 v143, 17, v54
	v_mul_lo_u16_e32 v54, 3, v143
	v_sub_u16_e32 v144, v118, v54
	v_lshlrev_b16_e32 v54, 1, v144
	v_accvgpr_write_b32 a165, v123
	v_lshlrev_b32_e32 v54, 4, v54
	v_accvgpr_write_b32 a164, v122
	v_accvgpr_write_b32 a163, v121
	;; [unrolled: 1-line block ×6, first 2 shown]
	global_load_dwordx4 v[118:121], v54, s[0:1] offset:16
	global_load_dwordx4 v[112:115], v54, s[0:1]
	s_waitcnt vmcnt(1)
	v_accvgpr_write_b32 a169, v121
	s_waitcnt vmcnt(0)
	v_mul_f64 v[54:55], v[50:51], v[114:115]
	v_fma_f64 v[54:55], v[48:49], v[112:113], -v[54:55]
	v_mul_f64 v[110:111], v[48:49], v[114:115]
	v_accvgpr_write_b32 a173, v115
	s_waitcnt lgkmcnt(0)
	v_mul_f64 v[48:49], v[46:47], v[120:121]
	v_accvgpr_write_b32 a172, v114
	v_accvgpr_write_b32 a171, v113
	;; [unrolled: 1-line block ×3, first 2 shown]
	v_fmac_f64_e32 v[110:111], v[50:51], v[112:113]
	v_fma_f64 v[112:113], v[44:45], v[118:119], -v[48:49]
	v_mul_f64 v[114:115], v[44:45], v[120:121]
	v_mul_u32_u24_sdwa v44, v116, s2 dst_sel:DWORD dst_unused:UNUSED_PAD src0_sel:WORD_0 src1_sel:DWORD
	v_lshrrev_b32_e32 v145, 17, v44
	v_mul_lo_u16_e32 v44, 3, v145
	v_sub_u16_e32 v146, v116, v44
	v_lshlrev_b16_e32 v44, 1, v146
	v_lshlrev_b32_e32 v44, 4, v44
	v_fmac_f64_e32 v[114:115], v[46:47], v[118:119]
	global_load_dwordx4 v[46:49], v44, s[0:1] offset:16
	global_load_dwordx4 v[150:153], v44, s[0:1]
	v_accvgpr_write_b32 a168, v120
	v_accvgpr_write_b32 a167, v119
	;; [unrolled: 1-line block ×3, first 2 shown]
	s_mov_b32 s2, 0xe8584caa
	s_mov_b32 s3, 0x3febb67a
	;; [unrolled: 1-line block ×3, first 2 shown]
	s_waitcnt lgkmcnt(0)
	; wave barrier
	s_waitcnt vmcnt(1)
	v_mul_f64 v[122:123], v[0:1], v[48:49]
	s_waitcnt vmcnt(0)
	v_mul_f64 v[44:45], v[6:7], v[152:153]
	v_fma_f64 v[116:117], v[4:5], v[150:151], -v[44:45]
	v_mul_f64 v[120:121], v[4:5], v[152:153]
	v_mul_f64 v[4:5], v[2:3], v[48:49]
	v_fma_f64 v[118:119], v[0:1], v[46:47], -v[4:5]
	v_add_f64 v[0:1], v[40:41], v[108:109]
	v_add_f64 v[44:45], v[0:1], v[106:107]
	;; [unrolled: 1-line block ×3, first 2 shown]
	v_accvgpr_write_b32 a177, v49
	v_fmac_f64_e32 v[40:41], -0.5, v[0:1]
	v_add_f64 v[0:1], v[104:105], -v[100:101]
	v_accvgpr_write_b32 a176, v48
	v_accvgpr_write_b32 a175, v47
	v_accvgpr_write_b32 a174, v46
	v_fma_f64 v[48:49], s[2:3], v[0:1], v[40:41]
	v_fmac_f64_e32 v[40:41], s[6:7], v[0:1]
	v_add_f64 v[0:1], v[42:43], v[104:105]
	v_fmac_f64_e32 v[122:123], v[2:3], v[46:47]
	v_add_f64 v[46:47], v[0:1], v[100:101]
	v_add_f64 v[0:1], v[104:105], v[100:101]
	v_fmac_f64_e32 v[42:43], -0.5, v[0:1]
	v_add_f64 v[0:1], v[108:109], -v[106:107]
	v_fma_f64 v[50:51], s[6:7], v[0:1], v[42:43]
	v_fmac_f64_e32 v[42:43], s[2:3], v[0:1]
	v_add_f64 v[0:1], v[36:37], v[102:103]
	v_add_f64 v[104:105], v[0:1], v[98:99]
	v_add_f64 v[0:1], v[102:103], v[98:99]
	v_fmac_f64_e32 v[36:37], -0.5, v[0:1]
	v_add_f64 v[0:1], v[96:97], -v[92:93]
	v_fma_f64 v[100:101], s[2:3], v[0:1], v[36:37]
	v_fmac_f64_e32 v[36:37], s[6:7], v[0:1]
	v_add_f64 v[0:1], v[38:39], v[96:97]
	;; [unrolled: 7-line block ×14, first 2 shown]
	v_add_f64 v[58:59], v[0:1], v[114:115]
	v_add_f64 v[0:1], v[110:111], v[114:115]
	v_fmac_f64_e32 v[14:15], -0.5, v[0:1]
	v_add_f64 v[0:1], v[54:55], -v[112:113]
	v_fmac_f64_e32 v[120:121], v[6:7], v[150:151]
	v_fma_f64 v[54:55], s[6:7], v[0:1], v[14:15]
	v_fmac_f64_e32 v[14:15], s[2:3], v[0:1]
	v_add_f64 v[0:1], v[116:117], v[118:119]
	v_fma_f64 v[0:1], -0.5, v[0:1], v[8:9]
	v_add_f64 v[2:3], v[120:121], -v[122:123]
	v_fma_f64 v[4:5], s[2:3], v[2:3], v[0:1]
	v_fmac_f64_e32 v[0:1], s[6:7], v[2:3]
	v_add_f64 v[2:3], v[120:121], v[122:123]
	v_fma_f64 v[2:3], -0.5, v[2:3], v[10:11]
	v_add_f64 v[108:109], v[116:117], -v[118:119]
	v_fma_f64 v[6:7], s[6:7], v[108:109], v[2:3]
	v_fmac_f64_e32 v[2:3], s[2:3], v[108:109]
	v_mul_u32_u24_e32 v108, 9, v124
	v_add_lshl_u32 v108, v108, v125, 4
	ds_write_b128 v108, v[44:47]
	ds_write_b128 v108, v[48:51] offset:48
	ds_write_b128 v108, v[40:43] offset:96
	v_mul_u32_u24_e32 v40, 9, v126
	v_add_lshl_u32 v40, v40, v127, 4
	scratch_store_dword off, v108, off offset:32 ; 4-byte Folded Spill
	ds_write_b128 v40, v[104:107]
	ds_write_b128 v40, v[100:103] offset:48
	ds_write_b128 v40, v[36:39] offset:96
	v_mul_u32_u24_e32 v36, 9, v129
	v_add_lshl_u32 v36, v36, v130, 4
	scratch_store_dword off, v40, off offset:52 ; 4-byte Folded Spill
	;; [unrolled: 6-line block ×3, first 2 shown]
	ds_write_b128 v32, v[88:91]
	ds_write_b128 v32, v[84:87] offset:48
	ds_write_b128 v32, v[28:31] offset:96
	v_mad_legacy_u16 v28, v135, 9, v137
	v_lshlrev_b32_e32 v28, 4, v28
	scratch_store_dword off, v32, off offset:60 ; 4-byte Folded Spill
	ds_write_b128 v28, v[80:83]
	ds_write_b128 v28, v[76:79] offset:48
	ds_write_b128 v28, v[24:27] offset:96
	v_mad_legacy_u16 v24, v139, 9, v140
	v_lshlrev_b32_e32 v24, 4, v24
	scratch_store_dword off, v28, off offset:64 ; 4-byte Folded Spill
	;; [unrolled: 6-line block ×3, first 2 shown]
	ds_write_b128 v20, v[64:67]
	ds_write_b128 v20, v[60:63] offset:48
	ds_write_b128 v20, v[16:19] offset:96
	v_mad_legacy_u16 v16, v143, 9, v144
	v_lshlrev_b32_e32 v16, 4, v16
	v_accvgpr_write_b32 a181, v153
	scratch_store_dword off, v20, off offset:376 ; 4-byte Folded Spill
	ds_write_b128 v16, v[56:59]
	ds_write_b128 v16, v[52:55] offset:48
	ds_write_b128 v16, v[12:15] offset:96
	v_mad_legacy_u16 v12, v145, 9, v146
	v_accvgpr_write_b32 a180, v152
	v_accvgpr_write_b32 a179, v151
	;; [unrolled: 1-line block ×4, first 2 shown]
	scratch_store_dword off, v16, off offset:380 ; 4-byte Folded Spill
	s_and_saveexec_b64 s[2:3], s[4:5]
	s_cbranch_execz .LBB0_11
; %bb.10:
	v_add_f64 v[10:11], v[10:11], v[120:121]
	v_add_f64 v[8:9], v[8:9], v[116:117]
	v_accvgpr_read_b32 v12, a189
	v_add_f64 v[10:11], v[10:11], v[122:123]
	v_add_f64 v[8:9], v[8:9], v[118:119]
	v_lshlrev_b32_e32 v12, 4, v12
	ds_write_b128 v12, v[8:11]
	ds_write_b128 v12, v[4:7] offset:48
	ds_write_b128 v12, v[0:3] offset:96
.LBB0_11:
	s_or_b64 exec, exec, s[2:3]
	v_mov_b32_e32 v20, 57
	v_mul_lo_u16_sdwa v8, v148, v20 dst_sel:DWORD dst_unused:UNUSED_PAD src0_sel:BYTE_0 src1_sel:DWORD
	v_lshrrev_b16_e32 v120, 9, v8
	v_mul_lo_u16_e32 v8, 9, v120
	v_sub_u16_e32 v8, v148, v8
	v_mul_lo_u16_sdwa v9, v138, v20 dst_sel:DWORD dst_unused:UNUSED_PAD src0_sel:BYTE_0 src1_sel:DWORD
	v_and_b32_e32 v121, 0xff, v8
	v_lshrrev_b16_e32 v122, 9, v9
	v_lshlrev_b32_e32 v8, 6, v121
	v_mul_lo_u16_e32 v9, 9, v122
	s_waitcnt lgkmcnt(0)
	; wave barrier
	s_waitcnt lgkmcnt(0)
	global_load_dwordx4 v[92:95], v8, s[0:1] offset:96
	global_load_dwordx4 v[78:81], v8, s[0:1] offset:112
	;; [unrolled: 1-line block ×4, first 2 shown]
	v_sub_u16_e32 v8, v138, v9
	v_and_b32_e32 v124, 0xff, v8
	v_lshlrev_b32_e32 v12, 6, v124
	global_load_dwordx4 v[188:191], v12, s[0:1] offset:96
	global_load_dwordx4 v[184:187], v12, s[0:1] offset:112
	ds_read_b128 v[16:19], v128
	ds_read_b128 v[8:11], v128 offset:1008
	global_load_dwordx4 v[172:175], v12, s[0:1] offset:144
	global_load_dwordx4 v[180:183], v12, s[0:1] offset:128
	v_mul_lo_u16_sdwa v12, v136, v20 dst_sel:DWORD dst_unused:UNUSED_PAD src0_sel:BYTE_0 src1_sel:DWORD
	v_mul_lo_u16_sdwa v20, v134, v20 dst_sel:DWORD dst_unused:UNUSED_PAD src0_sel:BYTE_0 src1_sel:DWORD
	v_lshrrev_b16_e32 v123, 9, v12
	v_lshrrev_b16_e32 v126, 9, v20
	v_mul_lo_u16_e32 v12, 9, v123
	v_mul_lo_u16_e32 v20, 9, v126
	v_sub_u16_e32 v12, v136, v12
	v_sub_u16_e32 v20, v134, v20
	v_and_b32_e32 v125, 0xff, v12
	v_and_b32_e32 v127, 0xff, v20
	v_lshlrev_b32_e32 v21, 6, v125
	v_lshlrev_b32_e32 v24, 6, v127
	s_mov_b32 s2, 0xe38f
	global_load_dwordx4 v[168:171], v21, s[0:1] offset:112
	global_load_dwordx4 v[176:179], v21, s[0:1] offset:96
	ds_read_b128 v[12:15], v128 offset:10080
	ds_read_b128 v[32:35], v128 offset:11088
	;; [unrolled: 1-line block ×6, first 2 shown]
	global_load_dwordx4 v[196:199], v21, s[0:1] offset:144
	global_load_dwordx4 v[204:207], v21, s[0:1] offset:128
	;; [unrolled: 1-line block ×4, first 2 shown]
	ds_read_b128 v[52:55], v128 offset:16128
	ds_read_b128 v[84:87], v128 offset:17136
	;; [unrolled: 1-line block ×4, first 2 shown]
	global_load_dwordx4 v[212:215], v24, s[0:1] offset:144
	global_load_dwordx4 v[220:223], v24, s[0:1] offset:128
	v_mul_u32_u24_sdwa v24, v132, s2 dst_sel:DWORD dst_unused:UNUSED_PAD src0_sel:WORD_0 src1_sel:DWORD
	v_lshrrev_b32_e32 v129, 19, v24
	v_mul_lo_u16_e32 v24, 9, v129
	v_sub_u16_e32 v130, v132, v24
	v_mov_b32_e32 v25, 0
	v_lshlrev_b16_e32 v24, 6, v130
	v_lshl_add_u64 v[60:61], s[0:1], 0, v[24:25]
	global_load_dwordx4 v[208:211], v[60:61], off offset:112
	global_load_dwordx4 v[216:219], v[60:61], off offset:96
	ds_read_b128 v[88:91], v128 offset:12096
	ds_read_b128 v[96:99], v128 offset:13104
	ds_read_b128 v[100:103], v128 offset:22176
	ds_read_b128 v[104:107], v128 offset:23184
	ds_read_b128 v[56:59], v128 offset:5040
	ds_read_b128 v[24:27], v128 offset:4032
	global_load_dwordx4 v[224:227], v[60:61], off offset:144
	global_load_dwordx4 v[228:231], v[60:61], off offset:128
	ds_read_b128 v[108:111], v128 offset:8064
	ds_read_b128 v[112:115], v128 offset:9072
	;; [unrolled: 1-line block ×5, first 2 shown]
	v_accvgpr_write_b32 a2, v148
	ds_read_b128 v[148:151], v128 offset:19152
	ds_read_b128 v[152:155], v128 offset:24192
	s_mov_b32 s6, 0x134454ff
	s_mov_b32 s7, 0x3fee6f0e
	;; [unrolled: 1-line block ×10, first 2 shown]
	s_waitcnt lgkmcnt(0)
	; wave barrier
	s_waitcnt vmcnt(19) lgkmcnt(0)
	v_mul_f64 v[76:77], v[56:57], v[94:95]
	s_waitcnt vmcnt(18)
	v_mul_f64 v[66:67], v[14:15], v[80:81]
	v_mul_f64 v[156:157], v[12:13], v[80:81]
	v_fma_f64 v[158:159], v[12:13], v[78:79], -v[66:67]
	s_waitcnt vmcnt(16)
	v_mul_f64 v[12:13], v[38:39], v[118:119]
	v_mul_f64 v[68:69], v[62:63], v[72:73]
	v_fma_f64 v[162:163], v[36:37], v[116:117], -v[12:13]
	s_waitcnt vmcnt(15)
	v_mul_f64 v[12:13], v[46:47], v[190:191]
	v_mul_f64 v[64:65], v[58:59], v[94:95]
	v_fmac_f64_e32 v[76:77], v[58:59], v[92:93]
	v_fma_f64 v[160:161], v[60:61], v[70:71], -v[68:69]
	v_mul_f64 v[60:61], v[60:61], v[72:73]
	v_fma_f64 v[58:59], v[44:45], v[188:189], -v[12:13]
	s_waitcnt vmcnt(14)
	v_mul_f64 v[12:13], v[34:35], v[186:187]
	v_accvgpr_write_b32 a193, v73
	v_fmac_f64_e32 v[60:61], v[62:63], v[70:71]
	v_fma_f64 v[62:63], v[32:33], v[184:185], -v[12:13]
	s_waitcnt vmcnt(12)
	v_mul_f64 v[12:13], v[54:55], v[182:183]
	v_accvgpr_write_b32 a192, v72
	v_accvgpr_write_b32 a191, v71
	;; [unrolled: 1-line block ×3, first 2 shown]
	v_fma_f64 v[72:73], v[52:53], v[180:181], -v[12:13]
	v_mul_f64 v[12:13], v[42:43], v[174:175]
	v_fma_f64 v[166:167], v[40:41], v[172:173], -v[12:13]
	s_waitcnt vmcnt(10)
	v_mul_f64 v[12:13], v[50:51], v[178:179]
	v_accvgpr_write_b32 a197, v81
	v_fma_f64 v[74:75], v[48:49], v[176:177], -v[12:13]
	v_mul_f64 v[12:13], v[90:91], v[170:171]
	v_accvgpr_write_b32 a201, v95
	v_accvgpr_write_b32 a196, v80
	v_accvgpr_write_b32 a195, v79
	v_accvgpr_write_b32 a194, v78
	v_fmac_f64_e32 v[156:157], v[14:15], v[78:79]
	v_fma_f64 v[78:79], v[88:89], v[168:169], -v[12:13]
	s_waitcnt vmcnt(8)
	v_mul_f64 v[12:13], v[86:87], v[206:207]
	s_waitcnt vmcnt(7)
	v_mul_f64 v[14:15], v[98:99], v[194:195]
	v_accvgpr_write_b32 a200, v94
	v_accvgpr_write_b32 a199, v93
	;; [unrolled: 1-line block ×3, first 2 shown]
	v_mul_f64 v[164:165], v[36:37], v[118:119]
	v_accvgpr_write_b32 a205, v119
	v_mul_f64 v[82:83], v[88:89], v[170:171]
	v_fma_f64 v[88:89], v[84:85], v[204:205], -v[12:13]
	v_mul_f64 v[84:85], v[84:85], v[206:207]
	v_fma_f64 v[94:95], v[96:97], v[192:193], -v[14:15]
	s_waitcnt vmcnt(4)
	v_mul_f64 v[14:15], v[146:147], v[222:223]
	v_accvgpr_write_b32 a204, v118
	v_accvgpr_write_b32 a203, v117
	;; [unrolled: 1-line block ×3, first 2 shown]
	v_fmac_f64_e32 v[164:165], v[38:39], v[116:117]
	v_mul_f64 v[66:67], v[32:33], v[186:187]
	v_fmac_f64_e32 v[84:85], v[86:87], v[204:205]
	v_mul_f64 v[86:87], v[100:101], v[198:199]
	v_fma_f64 v[116:117], v[144:145], v[220:221], -v[14:15]
	v_mul_f64 v[14:15], v[106:107], v[214:215]
	s_waitcnt vmcnt(3)
	v_mul_f64 v[32:33], v[142:143], v[210:211]
	v_mul_f64 v[12:13], v[102:103], v[198:199]
	v_fmac_f64_e32 v[86:87], v[102:103], v[196:197]
	v_fma_f64 v[118:119], v[104:105], v[212:213], -v[14:15]
	s_waitcnt vmcnt(2)
	v_mul_f64 v[14:15], v[114:115], v[218:219]
	v_fma_f64 v[102:103], v[140:141], v[208:209], -v[32:33]
	s_waitcnt vmcnt(0)
	v_mul_f64 v[32:33], v[150:151], v[230:231]
	v_fma_f64 v[56:57], v[56:57], v[92:93], -v[64:65]
	v_fma_f64 v[92:93], v[100:101], v[196:197], -v[12:13]
	v_mul_f64 v[100:101], v[104:105], v[214:215]
	v_fma_f64 v[14:15], v[112:113], v[216:217], -v[14:15]
	v_mul_f64 v[104:105], v[112:113], v[218:219]
	;; [unrolled: 2-line block ×3, first 2 shown]
	v_fmac_f64_e32 v[104:105], v[114:115], v[216:217]
	v_fma_f64 v[114:115], v[152:153], v[224:225], -v[32:33]
	v_add_f64 v[32:33], v[16:17], v[56:57]
	v_add_f64 v[32:33], v[32:33], v[158:159]
	;; [unrolled: 1-line block ×5, first 2 shown]
	v_fmac_f64_e32 v[66:67], v[34:35], v[184:185]
	v_mul_f64 v[70:71], v[40:41], v[174:175]
	v_fma_f64 v[32:33], -0.5, v[32:33], v[16:17]
	v_add_f64 v[34:35], v[76:77], -v[164:165]
	v_mul_f64 v[64:65], v[44:45], v[190:191]
	v_fmac_f64_e32 v[70:71], v[42:43], v[172:173]
	v_fma_f64 v[40:41], s[6:7], v[34:35], v[32:33]
	v_add_f64 v[38:39], v[156:157], -v[60:61]
	v_add_f64 v[42:43], v[56:57], -v[158:159]
	;; [unrolled: 1-line block ×3, first 2 shown]
	v_fmac_f64_e32 v[32:33], s[18:19], v[34:35]
	v_fmac_f64_e32 v[40:41], s[2:3], v[38:39]
	v_add_f64 v[42:43], v[42:43], v[44:45]
	v_fmac_f64_e32 v[32:33], s[20:21], v[38:39]
	v_fmac_f64_e32 v[40:41], s[16:17], v[42:43]
	;; [unrolled: 1-line block ×3, first 2 shown]
	v_add_f64 v[42:43], v[56:57], v[162:163]
	v_fmac_f64_e32 v[16:17], -0.5, v[42:43]
	v_fma_f64 v[44:45], s[18:19], v[38:39], v[16:17]
	v_fmac_f64_e32 v[16:17], s[6:7], v[38:39]
	v_fmac_f64_e32 v[44:45], s[2:3], v[34:35]
	;; [unrolled: 1-line block ×3, first 2 shown]
	v_add_f64 v[34:35], v[18:19], v[76:77]
	v_add_f64 v[34:35], v[34:35], v[156:157]
	;; [unrolled: 1-line block ×3, first 2 shown]
	v_fmac_f64_e32 v[64:65], v[46:47], v[188:189]
	v_add_f64 v[42:43], v[158:159], -v[56:57]
	v_add_f64 v[46:47], v[160:161], -v[162:163]
	v_add_f64 v[38:39], v[34:35], v[164:165]
	v_add_f64 v[34:35], v[156:157], v[60:61]
	v_mul_f64 v[80:81], v[48:49], v[178:179]
	v_add_f64 v[42:43], v[42:43], v[46:47]
	v_fma_f64 v[34:35], -0.5, v[34:35], v[18:19]
	v_add_f64 v[48:49], v[56:57], -v[162:163]
	v_mul_f64 v[68:69], v[52:53], v[182:183]
	v_fmac_f64_e32 v[80:81], v[50:51], v[176:177]
	v_fmac_f64_e32 v[44:45], s[16:17], v[42:43]
	;; [unrolled: 1-line block ×3, first 2 shown]
	v_fma_f64 v[42:43], s[18:19], v[48:49], v[34:35]
	v_add_f64 v[50:51], v[158:159], -v[160:161]
	v_add_f64 v[46:47], v[76:77], -v[156:157]
	v_add_f64 v[52:53], v[164:165], -v[60:61]
	v_fmac_f64_e32 v[34:35], s[6:7], v[48:49]
	v_fmac_f64_e32 v[42:43], s[20:21], v[50:51]
	v_add_f64 v[46:47], v[46:47], v[52:53]
	v_fmac_f64_e32 v[34:35], s[2:3], v[50:51]
	v_fmac_f64_e32 v[42:43], s[16:17], v[46:47]
	;; [unrolled: 1-line block ×3, first 2 shown]
	v_add_f64 v[46:47], v[76:77], v[164:165]
	v_fmac_f64_e32 v[18:19], -0.5, v[46:47]
	v_fma_f64 v[46:47], s[6:7], v[50:51], v[18:19]
	v_fmac_f64_e32 v[18:19], s[18:19], v[50:51]
	v_fmac_f64_e32 v[46:47], s[20:21], v[48:49]
	;; [unrolled: 1-line block ×3, first 2 shown]
	v_add_f64 v[48:49], v[8:9], v[58:59]
	v_fmac_f64_e32 v[68:69], v[54:55], v[180:181]
	v_add_f64 v[52:53], v[156:157], -v[76:77]
	v_add_f64 v[54:55], v[60:61], -v[164:165]
	v_add_f64 v[48:49], v[48:49], v[62:63]
	v_add_f64 v[52:53], v[52:53], v[54:55]
	;; [unrolled: 1-line block ×3, first 2 shown]
	v_fmac_f64_e32 v[46:47], s[16:17], v[52:53]
	v_fmac_f64_e32 v[18:19], s[16:17], v[52:53]
	v_add_f64 v[52:53], v[48:49], v[166:167]
	v_add_f64 v[48:49], v[62:63], v[72:73]
	v_fma_f64 v[48:49], -0.5, v[48:49], v[8:9]
	v_add_f64 v[50:51], v[64:65], -v[70:71]
	v_fma_f64 v[56:57], s[6:7], v[50:51], v[48:49]
	v_add_f64 v[54:55], v[66:67], -v[68:69]
	v_add_f64 v[60:61], v[58:59], -v[62:63]
	v_add_f64 v[76:77], v[166:167], -v[72:73]
	v_fmac_f64_e32 v[48:49], s[18:19], v[50:51]
	v_fmac_f64_e32 v[56:57], s[2:3], v[54:55]
	v_add_f64 v[60:61], v[60:61], v[76:77]
	v_fmac_f64_e32 v[48:49], s[20:21], v[54:55]
	v_fmac_f64_e32 v[56:57], s[16:17], v[60:61]
	;; [unrolled: 1-line block ×3, first 2 shown]
	v_add_f64 v[60:61], v[58:59], v[166:167]
	v_fmac_f64_e32 v[8:9], -0.5, v[60:61]
	v_fma_f64 v[60:61], s[18:19], v[54:55], v[8:9]
	v_fmac_f64_e32 v[8:9], s[6:7], v[54:55]
	v_fmac_f64_e32 v[60:61], s[2:3], v[50:51]
	;; [unrolled: 1-line block ×3, first 2 shown]
	v_add_f64 v[50:51], v[10:11], v[64:65]
	v_add_f64 v[50:51], v[50:51], v[66:67]
	v_fmac_f64_e32 v[100:101], v[106:107], v[212:213]
	v_mul_f64 v[106:107], v[140:141], v[210:211]
	v_add_f64 v[76:77], v[62:63], -v[58:59]
	v_add_f64 v[140:141], v[72:73], -v[166:167]
	v_add_f64 v[50:51], v[50:51], v[68:69]
	v_add_f64 v[76:77], v[76:77], v[140:141]
	;; [unrolled: 1-line block ×4, first 2 shown]
	v_fmac_f64_e32 v[60:61], s[16:17], v[76:77]
	v_fmac_f64_e32 v[8:9], s[16:17], v[76:77]
	v_fma_f64 v[50:51], -0.5, v[50:51], v[10:11]
	v_add_f64 v[76:77], v[58:59], -v[166:167]
	v_fma_f64 v[58:59], s[18:19], v[76:77], v[50:51]
	v_add_f64 v[72:73], v[62:63], -v[72:73]
	v_add_f64 v[62:63], v[64:65], -v[66:67]
	;; [unrolled: 1-line block ×3, first 2 shown]
	v_fmac_f64_e32 v[50:51], s[6:7], v[76:77]
	v_fmac_f64_e32 v[58:59], s[20:21], v[72:73]
	v_add_f64 v[62:63], v[62:63], v[140:141]
	v_fmac_f64_e32 v[50:51], s[2:3], v[72:73]
	v_fmac_f64_e32 v[58:59], s[16:17], v[62:63]
	;; [unrolled: 1-line block ×3, first 2 shown]
	v_add_f64 v[62:63], v[64:65], v[70:71]
	v_fmac_f64_e32 v[10:11], -0.5, v[62:63]
	v_fma_f64 v[62:63], s[6:7], v[72:73], v[10:11]
	v_add_f64 v[64:65], v[66:67], -v[64:65]
	v_add_f64 v[66:67], v[68:69], -v[70:71]
	v_fmac_f64_e32 v[10:11], s[18:19], v[72:73]
	v_fmac_f64_e32 v[62:63], s[20:21], v[76:77]
	v_add_f64 v[64:65], v[64:65], v[66:67]
	v_fmac_f64_e32 v[10:11], s[2:3], v[76:77]
	v_fmac_f64_e32 v[62:63], s[16:17], v[64:65]
	v_fmac_f64_e32 v[10:11], s[16:17], v[64:65]
	v_add_f64 v[64:65], v[28:29], v[74:75]
	v_add_f64 v[64:65], v[64:65], v[78:79]
	;; [unrolled: 1-line block ×5, first 2 shown]
	v_fmac_f64_e32 v[82:83], v[90:91], v[168:169]
	v_fma_f64 v[64:65], -0.5, v[64:65], v[28:29]
	v_add_f64 v[66:67], v[80:81], -v[86:87]
	v_fma_f64 v[72:73], s[6:7], v[66:67], v[64:65]
	v_add_f64 v[70:71], v[82:83], -v[84:85]
	v_add_f64 v[76:77], v[74:75], -v[78:79]
	;; [unrolled: 1-line block ×3, first 2 shown]
	v_fmac_f64_e32 v[64:65], s[18:19], v[66:67]
	v_fmac_f64_e32 v[72:73], s[2:3], v[70:71]
	v_add_f64 v[76:77], v[76:77], v[140:141]
	v_fmac_f64_e32 v[64:65], s[20:21], v[70:71]
	v_fmac_f64_e32 v[72:73], s[16:17], v[76:77]
	;; [unrolled: 1-line block ×3, first 2 shown]
	v_add_f64 v[76:77], v[74:75], v[92:93]
	v_fmac_f64_e32 v[28:29], -0.5, v[76:77]
	v_fma_f64 v[76:77], s[18:19], v[70:71], v[28:29]
	v_fmac_f64_e32 v[28:29], s[6:7], v[70:71]
	v_fmac_f64_e32 v[76:77], s[2:3], v[66:67]
	;; [unrolled: 1-line block ×3, first 2 shown]
	v_add_f64 v[66:67], v[30:31], v[80:81]
	v_add_f64 v[66:67], v[66:67], v[82:83]
	;; [unrolled: 1-line block ×3, first 2 shown]
	v_fmac_f64_e32 v[106:107], v[142:143], v[208:209]
	v_add_f64 v[140:141], v[78:79], -v[74:75]
	v_add_f64 v[142:143], v[88:89], -v[92:93]
	v_add_f64 v[70:71], v[66:67], v[86:87]
	v_add_f64 v[66:67], v[82:83], v[84:85]
	;; [unrolled: 1-line block ×3, first 2 shown]
	v_fma_f64 v[66:67], -0.5, v[66:67], v[30:31]
	v_add_f64 v[92:93], v[74:75], -v[92:93]
	v_fmac_f64_e32 v[76:77], s[16:17], v[140:141]
	v_fmac_f64_e32 v[28:29], s[16:17], v[140:141]
	v_fma_f64 v[74:75], s[18:19], v[92:93], v[66:67]
	v_add_f64 v[88:89], v[78:79], -v[88:89]
	v_add_f64 v[78:79], v[80:81], -v[82:83]
	;; [unrolled: 1-line block ×3, first 2 shown]
	v_fmac_f64_e32 v[66:67], s[6:7], v[92:93]
	v_fmac_f64_e32 v[74:75], s[20:21], v[88:89]
	v_add_f64 v[78:79], v[78:79], v[140:141]
	v_fmac_f64_e32 v[66:67], s[2:3], v[88:89]
	v_fmac_f64_e32 v[74:75], s[16:17], v[78:79]
	;; [unrolled: 1-line block ×3, first 2 shown]
	v_add_f64 v[78:79], v[80:81], v[86:87]
	v_fmac_f64_e32 v[30:31], -0.5, v[78:79]
	v_mul_f64 v[12:13], v[110:111], v[202:203]
	v_fma_f64 v[78:79], s[6:7], v[88:89], v[30:31]
	v_add_f64 v[80:81], v[82:83], -v[80:81]
	v_add_f64 v[82:83], v[84:85], -v[86:87]
	v_fmac_f64_e32 v[30:31], s[18:19], v[88:89]
	v_fma_f64 v[90:91], v[108:109], v[200:201], -v[12:13]
	v_fmac_f64_e32 v[78:79], s[20:21], v[92:93]
	v_add_f64 v[80:81], v[80:81], v[82:83]
	v_fmac_f64_e32 v[30:31], s[2:3], v[92:93]
	v_fmac_f64_e32 v[78:79], s[16:17], v[80:81]
	;; [unrolled: 1-line block ×3, first 2 shown]
	v_add_f64 v[80:81], v[20:21], v[90:91]
	v_add_f64 v[80:81], v[80:81], v[94:95]
	v_mul_f64 v[12:13], v[108:109], v[202:203]
	v_mul_f64 v[96:97], v[96:97], v[194:195]
	v_add_f64 v[80:81], v[80:81], v[116:117]
	v_fmac_f64_e32 v[12:13], v[110:111], v[200:201]
	v_fmac_f64_e32 v[96:97], v[98:99], v[192:193]
	v_mul_f64 v[98:99], v[144:145], v[222:223]
	v_add_f64 v[84:85], v[80:81], v[118:119]
	v_add_f64 v[80:81], v[94:95], v[116:117]
	v_fmac_f64_e32 v[98:99], v[146:147], v[220:221]
	v_fma_f64 v[80:81], -0.5, v[80:81], v[20:21]
	v_add_f64 v[82:83], v[12:13], -v[100:101]
	v_fma_f64 v[88:89], s[6:7], v[82:83], v[80:81]
	v_add_f64 v[86:87], v[96:97], -v[98:99]
	v_add_f64 v[92:93], v[90:91], -v[94:95]
	;; [unrolled: 1-line block ×3, first 2 shown]
	v_fmac_f64_e32 v[80:81], s[18:19], v[82:83]
	v_fmac_f64_e32 v[88:89], s[2:3], v[86:87]
	v_add_f64 v[92:93], v[92:93], v[140:141]
	v_fmac_f64_e32 v[80:81], s[20:21], v[86:87]
	v_fmac_f64_e32 v[88:89], s[16:17], v[92:93]
	;; [unrolled: 1-line block ×3, first 2 shown]
	v_add_f64 v[92:93], v[90:91], v[118:119]
	v_fmac_f64_e32 v[20:21], -0.5, v[92:93]
	v_fma_f64 v[92:93], s[18:19], v[86:87], v[20:21]
	v_fmac_f64_e32 v[20:21], s[6:7], v[86:87]
	v_fmac_f64_e32 v[92:93], s[2:3], v[82:83]
	;; [unrolled: 1-line block ×3, first 2 shown]
	v_add_f64 v[82:83], v[22:23], v[12:13]
	v_add_f64 v[82:83], v[82:83], v[96:97]
	;; [unrolled: 1-line block ×3, first 2 shown]
	v_add_f64 v[140:141], v[94:95], -v[90:91]
	v_add_f64 v[142:143], v[116:117], -v[118:119]
	v_add_f64 v[86:87], v[82:83], v[100:101]
	v_add_f64 v[82:83], v[96:97], v[98:99]
	;; [unrolled: 1-line block ×3, first 2 shown]
	v_fma_f64 v[82:83], -0.5, v[82:83], v[22:23]
	v_add_f64 v[118:119], v[90:91], -v[118:119]
	v_fmac_f64_e32 v[92:93], s[16:17], v[140:141]
	v_fmac_f64_e32 v[20:21], s[16:17], v[140:141]
	v_fma_f64 v[90:91], s[18:19], v[118:119], v[82:83]
	v_add_f64 v[116:117], v[94:95], -v[116:117]
	v_add_f64 v[94:95], v[12:13], -v[96:97]
	;; [unrolled: 1-line block ×3, first 2 shown]
	v_fmac_f64_e32 v[82:83], s[6:7], v[118:119]
	v_fmac_f64_e32 v[90:91], s[20:21], v[116:117]
	v_add_f64 v[94:95], v[94:95], v[140:141]
	v_fmac_f64_e32 v[82:83], s[2:3], v[116:117]
	v_fmac_f64_e32 v[90:91], s[16:17], v[94:95]
	;; [unrolled: 1-line block ×3, first 2 shown]
	v_add_f64 v[94:95], v[12:13], v[100:101]
	v_fmac_f64_e32 v[22:23], -0.5, v[94:95]
	v_fma_f64 v[94:95], s[6:7], v[116:117], v[22:23]
	v_add_f64 v[12:13], v[96:97], -v[12:13]
	v_add_f64 v[96:97], v[98:99], -v[100:101]
	v_fmac_f64_e32 v[22:23], s[18:19], v[116:117]
	v_fmac_f64_e32 v[94:95], s[20:21], v[118:119]
	v_add_f64 v[12:13], v[12:13], v[96:97]
	v_fmac_f64_e32 v[22:23], s[2:3], v[118:119]
	v_fmac_f64_e32 v[94:95], s[16:17], v[12:13]
	;; [unrolled: 1-line block ×3, first 2 shown]
	v_add_f64 v[12:13], v[24:25], v[14:15]
	v_add_f64 v[12:13], v[12:13], v[102:103]
	v_mul_f64 v[110:111], v[152:153], v[226:227]
	v_add_f64 v[12:13], v[12:13], v[112:113]
	v_mul_f64 v[108:109], v[148:149], v[230:231]
	v_fmac_f64_e32 v[110:111], v[154:155], v[224:225]
	v_add_f64 v[116:117], v[12:13], v[114:115]
	v_add_f64 v[12:13], v[102:103], v[112:113]
	v_fmac_f64_e32 v[108:109], v[150:151], v[228:229]
	v_fma_f64 v[96:97], -0.5, v[12:13], v[24:25]
	v_add_f64 v[98:99], v[104:105], -v[110:111]
	v_fma_f64 v[12:13], s[6:7], v[98:99], v[96:97]
	v_add_f64 v[118:119], v[106:107], -v[108:109]
	v_add_f64 v[100:101], v[14:15], -v[102:103]
	;; [unrolled: 1-line block ×3, first 2 shown]
	v_fmac_f64_e32 v[96:97], s[18:19], v[98:99]
	v_fmac_f64_e32 v[12:13], s[2:3], v[118:119]
	v_add_f64 v[100:101], v[100:101], v[140:141]
	v_fmac_f64_e32 v[96:97], s[20:21], v[118:119]
	v_fmac_f64_e32 v[12:13], s[16:17], v[100:101]
	;; [unrolled: 1-line block ×3, first 2 shown]
	v_add_f64 v[100:101], v[14:15], v[114:115]
	v_fmac_f64_e32 v[24:25], -0.5, v[100:101]
	v_fma_f64 v[100:101], s[18:19], v[118:119], v[24:25]
	v_fmac_f64_e32 v[24:25], s[6:7], v[118:119]
	v_fmac_f64_e32 v[100:101], s[2:3], v[98:99]
	;; [unrolled: 1-line block ×3, first 2 shown]
	v_add_f64 v[98:99], v[26:27], v[104:105]
	v_add_f64 v[98:99], v[98:99], v[106:107]
	;; [unrolled: 1-line block ×3, first 2 shown]
	v_add_f64 v[140:141], v[102:103], -v[14:15]
	v_add_f64 v[142:143], v[112:113], -v[114:115]
	v_add_f64 v[118:119], v[98:99], v[110:111]
	v_add_f64 v[98:99], v[106:107], v[108:109]
	;; [unrolled: 1-line block ×3, first 2 shown]
	v_fma_f64 v[98:99], -0.5, v[98:99], v[26:27]
	v_add_f64 v[114:115], v[14:15], -v[114:115]
	v_fmac_f64_e32 v[100:101], s[16:17], v[140:141]
	v_fmac_f64_e32 v[24:25], s[16:17], v[140:141]
	v_fma_f64 v[14:15], s[18:19], v[114:115], v[98:99]
	v_add_f64 v[112:113], v[102:103], -v[112:113]
	v_add_f64 v[102:103], v[104:105], -v[106:107]
	v_add_f64 v[140:141], v[110:111], -v[108:109]
	v_fmac_f64_e32 v[98:99], s[6:7], v[114:115]
	v_fmac_f64_e32 v[14:15], s[20:21], v[112:113]
	v_add_f64 v[102:103], v[102:103], v[140:141]
	v_fmac_f64_e32 v[98:99], s[2:3], v[112:113]
	v_fmac_f64_e32 v[14:15], s[16:17], v[102:103]
	;; [unrolled: 1-line block ×3, first 2 shown]
	v_add_f64 v[102:103], v[104:105], v[110:111]
	v_fmac_f64_e32 v[26:27], -0.5, v[102:103]
	v_fma_f64 v[102:103], s[6:7], v[112:113], v[26:27]
	v_add_f64 v[104:105], v[106:107], -v[104:105]
	v_add_f64 v[106:107], v[108:109], -v[110:111]
	v_fmac_f64_e32 v[26:27], s[18:19], v[112:113]
	v_fmac_f64_e32 v[102:103], s[20:21], v[114:115]
	v_add_f64 v[104:105], v[104:105], v[106:107]
	v_fmac_f64_e32 v[26:27], s[2:3], v[114:115]
	v_fmac_f64_e32 v[102:103], s[16:17], v[104:105]
	;; [unrolled: 1-line block ×3, first 2 shown]
	v_mul_u32_u24_e32 v104, 45, v120
	v_add_lshl_u32 v104, v104, v121, 4
	ds_write_b128 v104, v[36:39]
	ds_write_b128 v104, v[40:43] offset:144
	ds_write_b128 v104, v[44:47] offset:288
	;; [unrolled: 1-line block ×3, first 2 shown]
	v_mul_u32_u24_e32 v16, 45, v122
	v_add_lshl_u32 v16, v16, v124, 4
	ds_write_b128 v104, v[32:35] offset:576
	ds_write_b128 v16, v[52:55]
	ds_write_b128 v16, v[56:59] offset:144
	ds_write_b128 v16, v[60:63] offset:288
	;; [unrolled: 1-line block ×3, first 2 shown]
	v_mul_u32_u24_e32 v8, 45, v123
	v_add_lshl_u32 v8, v8, v125, 4
	ds_write_b128 v16, v[48:51] offset:576
	ds_write_b128 v8, v[68:71]
	ds_write_b128 v8, v[72:75] offset:144
	ds_write_b128 v8, v[76:79] offset:288
	;; [unrolled: 1-line block ×3, first 2 shown]
	v_accvgpr_write_b32 a255, v8
	ds_write_b128 v8, v[64:67] offset:576
	v_mul_u32_u24_e32 v8, 45, v126
	v_add_lshl_u32 v8, v8, v127, 4
	ds_write_b128 v8, v[84:87]
	ds_write_b128 v8, v[88:91] offset:144
	ds_write_b128 v8, v[92:95] offset:288
	;; [unrolled: 1-line block ×3, first 2 shown]
	v_accvgpr_write_b32 a3, v8
	ds_write_b128 v8, v[80:83] offset:576
	v_mad_legacy_u16 v8, v129, 45, v130
	v_lshlrev_b32_e32 v8, 4, v8
	v_accvgpr_write_b32 a57, v104
	v_accvgpr_write_b32 a254, v16
	ds_write_b128 v8, v[116:119]
	ds_write_b128 v8, v[12:15] offset:144
	ds_write_b128 v8, v[100:103] offset:288
	;; [unrolled: 1-line block ×4, first 2 shown]
	s_waitcnt lgkmcnt(0)
	; wave barrier
	s_waitcnt lgkmcnt(0)
	ds_read_b128 v[88:91], v128
	ds_read_b128 v[36:39], v128 offset:1008
	ds_read_b128 v[28:31], v128 offset:7200
	;; [unrolled: 1-line block ×20, first 2 shown]
	v_accvgpr_write_b32 a229, v191
	v_accvgpr_write_b32 a225, v187
	v_accvgpr_write_b32 a221, v183
	v_accvgpr_write_b32 a213, v175
	v_accvgpr_write_b32 a217, v179
	v_accvgpr_write_b32 a209, v171
	v_accvgpr_write_b32 a245, v207
	v_accvgpr_write_b32 a237, v199
	v_accvgpr_write_b32 a241, v203
	v_accvgpr_write_b32 a233, v195
	v_accvgpr_write_b32 a106, v220
	v_accvgpr_write_b32 a253, v215
	v_accvgpr_write_b32 a102, v216
	v_accvgpr_write_b32 a249, v211
	v_accvgpr_read_b32 v148, a2
	v_accvgpr_write_b32 a78, v228
	v_accvgpr_write_b32 a182, v224
	;; [unrolled: 1-line block ×51, first 2 shown]
	v_cmp_gt_u16_e64 s[2:3], 36, v148
                                        ; implicit-def: $vgpr92_vgpr93
	s_and_saveexec_b64 s[6:7], s[2:3]
	s_cbranch_execz .LBB0_13
; %bb.12:
	ds_read_b128 v[12:15], v128 offset:3024
	ds_read_b128 v[100:103], v128 offset:6624
	;; [unrolled: 1-line block ×7, first 2 shown]
.LBB0_13:
	s_or_b64 exec, exec, s[6:7]
	v_subrev_u32_e32 v8, 45, v148
	v_cmp_gt_u16_e32 vcc, 45, v148
	s_movk_i32 s7, 0x6d
	s_movk_i32 s6, 0x60
	v_cndmask_b32_e32 v129, v8, v148, vcc
	v_mul_hi_i32_i24_e32 v9, 0x60, v129
	v_mul_i32_i24_e32 v8, 0x60, v129
	v_lshl_add_u64 v[20:21], s[0:1], 0, v[8:9]
	global_load_dwordx4 v[144:147], v[20:21], off offset:720
	global_load_dwordx4 v[140:143], v[20:21], off offset:704
	;; [unrolled: 1-line block ×4, first 2 shown]
	v_mov_b64_e32 v[130:131], s[0:1]
	s_mov_b32 s20, 0xe976ee23
	s_mov_b32 s21, 0xbfe11646
	;; [unrolled: 1-line block ×16, first 2 shown]
	s_waitcnt vmcnt(3)
	v_accvgpr_write_b32 a90, v144
	s_waitcnt vmcnt(2)
	v_accvgpr_write_b32 a62, v140
	s_waitcnt vmcnt(1) lgkmcnt(14)
	v_mul_f64 v[22:23], v[30:31], v[126:127]
	s_waitcnt vmcnt(0) lgkmcnt(12)
	v_mul_f64 v[8:9], v[62:63], v[122:123]
	v_mul_f64 v[10:11], v[60:61], v[122:123]
	v_accvgpr_write_b32 a94, v120
	v_accvgpr_write_b32 a48, v124
	v_fma_f64 v[8:9], v[60:61], v[120:121], -v[8:9]
	v_accvgpr_write_b32 a95, v121
	v_accvgpr_write_b32 a96, v122
	;; [unrolled: 1-line block ×3, first 2 shown]
	v_fmac_f64_e32 v[10:11], v[62:63], v[120:121]
	v_fma_f64 v[120:121], v[28:29], v[124:125], -v[22:23]
	v_mul_f64 v[122:123], v[28:29], v[126:127]
	v_accvgpr_write_b32 a49, v125
	v_accvgpr_write_b32 a50, v126
	;; [unrolled: 1-line block ×3, first 2 shown]
	s_waitcnt lgkmcnt(8)
	v_mul_f64 v[22:23], v[50:51], v[142:143]
	v_mul_f64 v[126:127], v[48:49], v[142:143]
	v_accvgpr_write_b32 a63, v141
	v_accvgpr_write_b32 a64, v142
	;; [unrolled: 1-line block ×3, first 2 shown]
	v_mul_f64 v[142:143], v[16:17], v[146:147]
	v_fmac_f64_e32 v[122:123], v[30:31], v[124:125]
	v_fma_f64 v[124:125], v[48:49], v[140:141], -v[22:23]
	v_mul_f64 v[22:23], v[18:19], v[146:147]
	v_fmac_f64_e32 v[142:143], v[18:19], v[144:145]
	global_load_dwordx4 v[28:31], v[20:21], off offset:752
	s_nop 0
	global_load_dwordx4 v[18:21], v[20:21], off offset:736
	v_fmac_f64_e32 v[126:127], v[50:51], v[140:141]
	v_fma_f64 v[140:141], v[16:17], v[144:145], -v[22:23]
	v_accvgpr_write_b32 a91, v145
	v_accvgpr_write_b32 a92, v146
	;; [unrolled: 1-line block ×3, first 2 shown]
	v_mov_b32_e32 v60, v148
	v_cmp_lt_u16_e32 vcc, 44, v60
	s_waitcnt vmcnt(1)
	v_mul_f64 v[170:171], v[40:41], v[30:31]
	s_waitcnt vmcnt(0) lgkmcnt(4)
	v_mul_f64 v[16:17], v[46:47], v[20:21]
	v_fma_f64 v[160:161], v[44:45], v[18:19], -v[16:17]
	v_mul_f64 v[16:17], v[42:43], v[30:31]
	v_fma_f64 v[168:169], v[40:41], v[28:29], -v[16:17]
	v_mul_lo_u16_sdwa v16, v138, s7 dst_sel:DWORD dst_unused:UNUSED_PAD src0_sel:BYTE_0 src1_sel:DWORD
	v_sub_u16_sdwa v17, v138, v16 dst_sel:DWORD dst_unused:UNUSED_PAD src0_sel:DWORD src1_sel:BYTE_1
	v_lshrrev_b16_e32 v17, 1, v17
	v_and_b32_e32 v17, 0x7f, v17
	v_add_u16_sdwa v16, v17, v16 dst_sel:DWORD dst_unused:UNUSED_PAD src0_sel:DWORD src1_sel:BYTE_1
	v_lshrrev_b16_e32 v133, 5, v16
	v_mul_lo_u16_e32 v16, 45, v133
	v_sub_u16_e32 v16, v138, v16
	v_and_b32_e32 v135, 0xff, v16
	v_mul_f64 v[162:163], v[44:45], v[20:21]
	v_accvgpr_write_b32 a85, v21
	v_accvgpr_write_b32 a12, v28
	v_mad_u64_u32 v[16:17], s[16:17], v135, s6, v[130:131]
	v_accvgpr_write_b32 a84, v20
	v_accvgpr_write_b32 a83, v19
	;; [unrolled: 1-line block ×3, first 2 shown]
	v_fmac_f64_e32 v[162:163], v[46:47], v[18:19]
	v_accvgpr_write_b32 a13, v29
	v_accvgpr_write_b32 a14, v30
	;; [unrolled: 1-line block ×3, first 2 shown]
	v_fmac_f64_e32 v[170:171], v[42:43], v[28:29]
	global_load_dwordx4 v[20:23], v[16:17], off offset:720
	global_load_dwordx4 v[28:31], v[16:17], off offset:704
	;; [unrolled: 1-line block ×4, first 2 shown]
	s_waitcnt vmcnt(3)
	v_accvgpr_write_b32 a31, v23
	s_waitcnt vmcnt(2)
	v_mul_f64 v[154:155], v[72:73], v[30:31]
	v_accvgpr_write_b32 a8, v28
	s_waitcnt vmcnt(0)
	v_mul_f64 v[18:19], v[86:87], v[46:47]
	v_fma_f64 v[144:145], v[84:85], v[44:45], -v[18:19]
	v_mul_f64 v[18:19], v[58:59], v[42:43]
	v_fma_f64 v[148:149], v[56:57], v[40:41], -v[18:19]
	;; [unrolled: 2-line block ×4, first 2 shown]
	v_mul_f64 v[52:53], v[52:53], v[22:23]
	v_accvgpr_write_b32 a9, v29
	v_accvgpr_write_b32 a10, v30
	;; [unrolled: 1-line block ×3, first 2 shown]
	v_fmac_f64_e32 v[154:155], v[74:75], v[28:29]
	v_accvgpr_write_b32 a30, v22
	v_accvgpr_write_b32 a29, v21
	;; [unrolled: 1-line block ×3, first 2 shown]
	v_fmac_f64_e32 v[52:53], v[54:55], v[20:21]
	global_load_dwordx4 v[18:21], v[16:17], off offset:752
	global_load_dwordx4 v[28:31], v[16:17], off offset:736
	v_mul_f64 v[146:147], v[84:85], v[46:47]
	v_fmac_f64_e32 v[146:147], v[86:87], v[44:45]
	v_accvgpr_write_b32 a55, v47
	v_mul_f64 v[150:151], v[56:57], v[42:43]
	v_accvgpr_write_b32 a24, v40
	v_accvgpr_write_b32 a54, v46
	;; [unrolled: 1-line block ×7, first 2 shown]
	v_fmac_f64_e32 v[150:151], v[58:59], v[40:41]
	s_waitcnt vmcnt(1)
	v_mul_f64 v[166:167], v[64:65], v[20:21]
	s_waitcnt vmcnt(0) lgkmcnt(2)
	v_mul_f64 v[16:17], v[70:71], v[30:31]
	v_fma_f64 v[54:55], v[68:69], v[28:29], -v[16:17]
	v_mul_f64 v[16:17], v[66:67], v[20:21]
	v_fma_f64 v[164:165], v[64:65], v[18:19], -v[16:17]
	v_mul_lo_u16_sdwa v16, v136, s7 dst_sel:DWORD dst_unused:UNUSED_PAD src0_sel:BYTE_0 src1_sel:DWORD
	v_sub_u16_sdwa v17, v136, v16 dst_sel:DWORD dst_unused:UNUSED_PAD src0_sel:DWORD src1_sel:BYTE_1
	v_lshrrev_b16_e32 v17, 1, v17
	v_and_b32_e32 v17, 0x7f, v17
	v_add_u16_sdwa v16, v17, v16 dst_sel:DWORD dst_unused:UNUSED_PAD src0_sel:DWORD src1_sel:BYTE_1
	v_lshrrev_b16_e32 v137, 5, v16
	v_mul_lo_u16_e32 v16, 45, v137
	v_sub_u16_e32 v16, v136, v16
	v_and_b32_e32 v139, 0xff, v16
	v_mul_f64 v[158:159], v[68:69], v[30:31]
	v_mad_u64_u32 v[16:17], s[16:17], v139, s6, v[130:131]
	v_fmac_f64_e32 v[158:159], v[70:71], v[28:29]
	v_fmac_f64_e32 v[166:167], v[66:67], v[18:19]
	global_load_dwordx4 v[64:67], v[16:17], off offset:720
	global_load_dwordx4 v[68:71], v[16:17], off offset:704
	;; [unrolled: 1-line block ×4, first 2 shown]
	v_accvgpr_write_b32 a61, v21
	v_accvgpr_write_b32 a60, v20
	;; [unrolled: 1-line block ×8, first 2 shown]
	s_mov_b32 s16, 0x37e14327
	s_mov_b32 s17, 0x3fe948f6
	s_waitcnt vmcnt(3)
	v_mul_f64 v[186:187], v[76:77], v[66:67]
	s_waitcnt vmcnt(2)
	v_mul_f64 v[182:183], v[80:81], v[70:71]
	v_fmac_f64_e32 v[182:183], v[82:83], v[68:69]
	s_waitcnt vmcnt(0)
	v_mul_f64 v[18:19], v[118:119], v[86:87]
	v_fma_f64 v[172:173], v[116:117], v[84:85], -v[18:19]
	v_mul_f64 v[18:19], v[114:115], v[74:75]
	v_fma_f64 v[176:177], v[112:113], v[72:73], -v[18:19]
	v_mul_f64 v[18:19], v[82:83], v[70:71]
	v_fma_f64 v[180:181], v[80:81], v[68:69], -v[18:19]
	v_mul_f64 v[18:19], v[78:79], v[66:67]
	v_fma_f64 v[184:185], v[76:77], v[64:65], -v[18:19]
	v_fmac_f64_e32 v[186:187], v[78:79], v[64:65]
	global_load_dwordx4 v[76:79], v[16:17], off offset:752
	global_load_dwordx4 v[80:83], v[16:17], off offset:736
	v_mul_f64 v[178:179], v[112:113], v[74:75]
	v_fmac_f64_e32 v[178:179], v[114:115], v[72:73]
	v_mul_f64 v[174:175], v[116:117], v[86:87]
	v_fmac_f64_e32 v[174:175], v[118:119], v[84:85]
	s_waitcnt vmcnt(1) lgkmcnt(0)
	v_mul_f64 v[194:195], v[104:105], v[78:79]
	s_waitcnt vmcnt(0)
	v_mul_f64 v[16:17], v[110:111], v[82:83]
	v_fma_f64 v[188:189], v[108:109], v[80:81], -v[16:17]
	v_mul_f64 v[16:17], v[106:107], v[78:79]
	v_fma_f64 v[192:193], v[104:105], v[76:77], -v[16:17]
	v_mul_lo_u16_sdwa v16, v134, s7 dst_sel:DWORD dst_unused:UNUSED_PAD src0_sel:BYTE_0 src1_sel:DWORD
	v_sub_u16_sdwa v17, v134, v16 dst_sel:DWORD dst_unused:UNUSED_PAD src0_sel:DWORD src1_sel:BYTE_1
	v_lshrrev_b16_e32 v17, 1, v17
	v_and_b32_e32 v17, 0x7f, v17
	v_add_u16_sdwa v16, v17, v16 dst_sel:DWORD dst_unused:UNUSED_PAD src0_sel:DWORD src1_sel:BYTE_1
	v_lshrrev_b16_e32 v16, 5, v16
	v_mul_lo_u16_e32 v16, 45, v16
	v_sub_u16_e32 v16, v134, v16
	v_and_b32_e32 v216, 0xff, v16
	scratch_store_dword off, v16, off offset:388 ; 4-byte Folded Spill
	v_mad_u64_u32 v[16:17], s[6:7], v216, s6, v[130:131]
	global_load_dwordx4 v[20:23], v[16:17], off offset:720
	global_load_dwordx4 v[28:31], v[16:17], off offset:704
	;; [unrolled: 1-line block ×4, first 2 shown]
	s_mov_b32 s6, 0x36b3c0b5
	s_mov_b32 s7, 0x3fac98ee
	v_fmac_f64_e32 v[194:195], v[106:107], v[76:77]
	v_mul_f64 v[190:191], v[108:109], v[82:83]
	v_fmac_f64_e32 v[190:191], v[110:111], v[80:81]
	s_waitcnt vmcnt(3)
	v_mul_f64 v[210:211], v[4:5], v[22:23]
	v_accvgpr_write_b32 a39, v23
	s_waitcnt vmcnt(1)
	v_mul_f64 v[202:203], v[24:25], v[42:43]
	s_waitcnt vmcnt(0)
	v_mul_f64 v[18:19], v[102:103], v[46:47]
	v_fma_f64 v[196:197], v[100:101], v[44:45], -v[18:19]
	v_mul_f64 v[18:19], v[26:27], v[42:43]
	v_fma_f64 v[200:201], v[24:25], v[40:41], -v[18:19]
	;; [unrolled: 2-line block ×3, first 2 shown]
	v_mul_f64 v[18:19], v[6:7], v[22:23]
	v_fmac_f64_e32 v[202:203], v[26:27], v[40:41]
	v_fma_f64 v[208:209], v[4:5], v[20:21], -v[18:19]
	global_load_dwordx4 v[24:27], v[16:17], off offset:752
	s_nop 0
	global_load_dwordx4 v[16:19], v[16:17], off offset:736
	v_accvgpr_write_b32 a40, v40
	v_mul_f64 v[206:207], v[96:97], v[30:31]
	v_accvgpr_write_b32 a47, v31
	v_accvgpr_write_b32 a38, v22
	;; [unrolled: 1-line block ×4, first 2 shown]
	v_fmac_f64_e32 v[210:211], v[6:7], v[20:21]
	v_mul_f64 v[198:199], v[100:101], v[46:47]
	v_accvgpr_write_b32 a4, v44
	v_accvgpr_write_b32 a41, v41
	;; [unrolled: 1-line block ×7, first 2 shown]
	v_fmac_f64_e32 v[206:207], v[98:99], v[28:29]
	v_add_f64 v[6:7], v[10:11], -v[170:171]
	v_add_f64 v[28:29], v[140:141], -v[124:125]
	v_accvgpr_write_b32 a5, v45
	v_accvgpr_write_b32 a6, v46
	;; [unrolled: 1-line block ×3, first 2 shown]
	v_fmac_f64_e32 v[198:199], v[102:103], v[44:45]
	v_add_f64 v[30:31], v[142:143], -v[126:127]
	s_waitcnt lgkmcnt(0)
	; wave barrier
	s_waitcnt vmcnt(1)
	v_mul_f64 v[22:23], v[92:93], v[26:27]
	s_waitcnt vmcnt(0)
	v_mul_f64 v[4:5], v[2:3], v[18:19]
	v_fma_f64 v[212:213], v[0:1], v[16:17], -v[4:5]
	v_mul_f64 v[214:215], v[0:1], v[18:19]
	v_mul_f64 v[0:1], v[94:95], v[26:27]
	v_accvgpr_write_b32 a35, v19
	v_fma_f64 v[20:21], v[92:93], v[24:25], -v[0:1]
	v_accvgpr_write_b32 a69, v27
	v_add_f64 v[0:1], v[8:9], v[168:169]
	v_add_f64 v[4:5], v[8:9], -v[168:169]
	v_add_f64 v[8:9], v[120:121], v[160:161]
	v_accvgpr_write_b32 a34, v18
	v_accvgpr_write_b32 a33, v17
	;; [unrolled: 1-line block ×3, first 2 shown]
	v_fmac_f64_e32 v[214:215], v[2:3], v[16:17]
	v_accvgpr_write_b32 a68, v26
	v_accvgpr_write_b32 a67, v25
	;; [unrolled: 1-line block ×3, first 2 shown]
	v_fmac_f64_e32 v[22:23], v[94:95], v[24:25]
	v_add_f64 v[2:3], v[10:11], v[170:171]
	v_add_f64 v[10:11], v[122:123], v[162:163]
	v_add_f64 v[16:17], v[120:121], -v[160:161]
	v_add_f64 v[24:25], v[124:125], v[140:141]
	v_add_f64 v[40:41], v[8:9], v[0:1]
	v_add_f64 v[18:19], v[122:123], -v[162:163]
	;; [unrolled: 3-line block ×3, first 2 shown]
	v_add_f64 v[48:49], v[0:1], -v[24:25]
	v_add_f64 v[8:9], v[24:25], -v[8:9]
	v_add_f64 v[0:1], v[28:29], v[16:17]
	v_add_f64 v[24:25], v[24:25], v[40:41]
	v_add_f64 v[46:47], v[10:11], -v[2:3]
	v_add_f64 v[50:51], v[2:3], -v[26:27]
	v_add_f64 v[10:11], v[26:27], -v[10:11]
	v_add_f64 v[2:3], v[30:31], v[18:19]
	v_add_f64 v[92:93], v[28:29], -v[16:17]
	v_add_f64 v[28:29], v[4:5], -v[28:29]
	;; [unrolled: 1-line block ×3, first 2 shown]
	v_add_f64 v[26:27], v[26:27], v[42:43]
	v_add_f64 v[4:5], v[0:1], v[4:5]
	;; [unrolled: 1-line block ×3, first 2 shown]
	v_add_f64 v[94:95], v[30:31], -v[18:19]
	v_add_f64 v[30:31], v[6:7], -v[30:31]
	;; [unrolled: 1-line block ×3, first 2 shown]
	v_add_f64 v[6:7], v[2:3], v[6:7]
	v_add_f64 v[2:3], v[90:91], v[26:27]
	v_mul_f64 v[102:103], v[92:93], s[20:21]
	v_mov_b64_e32 v[92:93], v[0:1]
	v_mul_f64 v[40:41], v[48:49], s[16:17]
	v_mul_f64 v[42:43], v[50:51], s[16:17]
	;; [unrolled: 1-line block ×6, first 2 shown]
	v_fmac_f64_e32 v[92:93], s[22:23], v[24:25]
	v_mov_b64_e32 v[24:25], v[2:3]
	v_mul_f64 v[50:51], v[10:11], s[6:7]
	v_fmac_f64_e32 v[24:25], s[22:23], v[26:27]
	v_fma_f64 v[26:27], v[44:45], s[24:25], -v[48:49]
	v_fma_f64 v[44:45], v[44:45], s[26:27], -v[40:41]
	v_fmac_f64_e32 v[40:41], s[6:7], v[8:9]
	v_fma_f64 v[8:9], v[46:47], s[26:27], -v[42:43]
	v_fmac_f64_e32 v[42:43], s[6:7], v[10:11]
	;; [unrolled: 2-line block ×3, first 2 shown]
	v_fma_f64 v[16:17], v[18:19], s[18:19], -v[100:101]
	v_fma_f64 v[18:19], v[28:29], s[34:35], -v[88:89]
	;; [unrolled: 1-line block ×4, first 2 shown]
	v_fmac_f64_e32 v[100:101], s[28:29], v[30:31]
	v_add_f64 v[44:45], v[44:45], v[92:93]
	v_add_f64 v[8:9], v[8:9], v[24:25]
	v_fmac_f64_e32 v[18:19], s[30:31], v[4:5]
	v_fmac_f64_e32 v[28:29], s[30:31], v[6:7]
	v_add_f64 v[30:31], v[40:41], v[92:93]
	v_add_f64 v[40:41], v[42:43], v[24:25]
	;; [unrolled: 1-line block ×4, first 2 shown]
	v_fmac_f64_e32 v[100:101], s[30:31], v[6:7]
	v_fmac_f64_e32 v[10:11], s[30:31], v[4:5]
	v_add_f64 v[24:25], v[28:29], v[44:45]
	v_add_f64 v[26:27], v[8:9], -v[18:19]
	v_add_f64 v[96:97], v[44:45], -v[28:29]
	v_add_f64 v[98:99], v[18:19], v[8:9]
	v_add_f64 v[8:9], v[144:145], v[164:165]
	v_add_f64 v[28:29], v[148:149], v[54:55]
	v_fmac_f64_e32 v[102:103], s[30:31], v[4:5]
	v_add_f64 v[4:5], v[100:101], v[30:31]
	v_add_f64 v[90:91], v[10:11], v[46:47]
	v_add_f64 v[94:95], v[46:47], -v[10:11]
	v_add_f64 v[100:101], v[30:31], -v[100:101]
	v_add_f64 v[10:11], v[146:147], v[166:167]
	v_add_f64 v[30:31], v[150:151], v[158:159]
	;; [unrolled: 1-line block ×4, first 2 shown]
	v_add_f64 v[50:51], v[52:53], -v[154:155]
	v_add_f64 v[52:53], v[28:29], v[8:9]
	v_fmac_f64_e32 v[16:17], s[30:31], v[6:7]
	v_add_f64 v[6:7], v[40:41], -v[102:103]
	v_add_f64 v[102:103], v[102:103], v[40:41]
	v_add_f64 v[40:41], v[148:149], -v[54:55]
	v_add_f64 v[48:49], v[156:157], -v[152:153]
	v_add_f64 v[54:55], v[30:31], v[10:11]
	v_add_f64 v[104:105], v[28:29], -v[8:9]
	v_add_f64 v[8:9], v[8:9], -v[44:45]
	;; [unrolled: 1-line block ×3, first 2 shown]
	v_add_f64 v[44:45], v[44:45], v[52:53]
	v_add_f64 v[88:89], v[42:43], -v[16:17]
	v_add_f64 v[92:93], v[16:17], v[42:43]
	v_add_f64 v[16:17], v[144:145], -v[164:165]
	v_add_f64 v[42:43], v[150:151], -v[158:159]
	;; [unrolled: 1-line block ×6, first 2 shown]
	v_add_f64 v[46:47], v[46:47], v[54:55]
	v_add_f64 v[36:37], v[36:37], v[44:45]
	v_add_f64 v[18:19], v[146:147], -v[166:167]
	v_add_f64 v[108:109], v[48:49], v[40:41]
	v_add_f64 v[114:115], v[50:51], -v[42:43]
	v_add_f64 v[40:41], v[40:41], -v[16:17]
	v_add_f64 v[38:39], v[38:39], v[46:47]
	v_mul_f64 v[126:127], v[112:113], s[20:21]
	v_mov_b64_e32 v[112:113], v[36:37]
	v_add_f64 v[110:111], v[50:51], v[42:43]
	v_add_f64 v[48:49], v[16:17], -v[48:49]
	v_add_f64 v[50:51], v[18:19], -v[50:51]
	;; [unrolled: 1-line block ×3, first 2 shown]
	v_add_f64 v[16:17], v[108:109], v[16:17]
	v_mul_f64 v[8:9], v[8:9], s[16:17]
	v_mul_f64 v[10:11], v[10:11], s[16:17]
	;; [unrolled: 1-line block ×6, first 2 shown]
	v_fmac_f64_e32 v[112:113], s[22:23], v[44:45]
	v_mov_b64_e32 v[44:45], v[38:39]
	v_add_f64 v[18:19], v[110:111], v[18:19]
	v_mul_f64 v[110:111], v[42:43], s[18:19]
	v_fmac_f64_e32 v[44:45], s[22:23], v[46:47]
	v_fma_f64 v[46:47], v[104:105], s[24:25], -v[52:53]
	v_fma_f64 v[52:53], v[106:107], s[24:25], -v[54:55]
	;; [unrolled: 1-line block ×3, first 2 shown]
	v_fmac_f64_e32 v[8:9], s[6:7], v[28:29]
	v_fma_f64 v[28:29], v[106:107], s[26:27], -v[10:11]
	v_fmac_f64_e32 v[10:11], s[6:7], v[30:31]
	v_fma_f64 v[30:31], v[40:41], s[18:19], -v[126:127]
	v_fma_f64 v[40:41], v[42:43], s[18:19], -v[124:125]
	v_fmac_f64_e32 v[124:125], s[28:29], v[50:51]
	v_fma_f64 v[42:43], v[48:49], s[34:35], -v[108:109]
	v_fmac_f64_e32 v[126:127], s[28:29], v[48:49]
	v_fma_f64 v[48:49], v[50:51], s[34:35], -v[110:111]
	v_add_f64 v[8:9], v[8:9], v[112:113]
	v_add_f64 v[28:29], v[28:29], v[44:45]
	v_fmac_f64_e32 v[124:125], s[30:31], v[18:19]
	v_fmac_f64_e32 v[42:43], s[30:31], v[16:17]
	v_add_f64 v[10:11], v[10:11], v[44:45]
	v_add_f64 v[46:47], v[46:47], v[112:113]
	;; [unrolled: 1-line block ×4, first 2 shown]
	v_fmac_f64_e32 v[126:127], s[30:31], v[16:17]
	v_fmac_f64_e32 v[30:31], s[30:31], v[16:17]
	v_fmac_f64_e32 v[40:41], s[30:31], v[18:19]
	v_fmac_f64_e32 v[48:49], s[30:31], v[18:19]
	v_add_f64 v[104:105], v[124:125], v[8:9]
	v_add_f64 v[110:111], v[28:29], -v[42:43]
	v_add_f64 v[122:123], v[42:43], v[28:29]
	v_add_f64 v[124:125], v[8:9], -v[124:125]
	v_add_f64 v[8:9], v[172:173], v[192:193]
	v_add_f64 v[28:29], v[176:177], v[188:189]
	v_add_f64 v[106:107], v[10:11], -v[126:127]
	v_add_f64 v[108:109], v[48:49], v[52:53]
	v_add_f64 v[112:113], v[46:47], -v[40:41]
	v_add_f64 v[114:115], v[30:31], v[50:51]
	v_add_f64 v[116:117], v[40:41], v[46:47]
	v_add_f64 v[118:119], v[50:51], -v[30:31]
	v_add_f64 v[120:121], v[52:53], -v[48:49]
	v_add_f64 v[126:127], v[126:127], v[10:11]
	v_add_f64 v[10:11], v[174:175], v[194:195]
	v_add_f64 v[30:31], v[178:179], v[190:191]
	v_add_f64 v[40:41], v[176:177], -v[188:189]
	v_add_f64 v[44:45], v[180:181], v[184:185]
	v_add_f64 v[48:49], v[184:185], -v[180:181]
	v_add_f64 v[52:53], v[28:29], v[8:9]
	v_add_f64 v[16:17], v[172:173], -v[192:193]
	v_add_f64 v[42:43], v[178:179], -v[190:191]
	v_add_f64 v[46:47], v[182:183], v[186:187]
	v_add_f64 v[50:51], v[186:187], -v[182:183]
	v_add_f64 v[54:55], v[30:31], v[10:11]
	v_add_f64 v[130:131], v[28:29], -v[8:9]
	v_add_f64 v[142:143], v[8:9], -v[44:45]
	;; [unrolled: 1-line block ×3, first 2 shown]
	v_add_f64 v[8:9], v[48:49], v[40:41]
	v_add_f64 v[44:45], v[44:45], v[52:53]
	v_add_f64 v[18:19], v[174:175], -v[194:195]
	v_add_f64 v[140:141], v[30:31], -v[10:11]
	;; [unrolled: 1-line block ×4, first 2 shown]
	v_add_f64 v[10:11], v[50:51], v[42:43]
	v_add_f64 v[146:147], v[48:49], -v[40:41]
	v_add_f64 v[48:49], v[16:17], -v[48:49]
	;; [unrolled: 1-line block ×3, first 2 shown]
	v_add_f64 v[46:47], v[46:47], v[54:55]
	v_add_f64 v[16:17], v[8:9], v[16:17]
	;; [unrolled: 1-line block ×3, first 2 shown]
	v_add_f64 v[148:149], v[50:51], -v[42:43]
	v_add_f64 v[50:51], v[18:19], -v[50:51]
	;; [unrolled: 1-line block ×3, first 2 shown]
	v_add_f64 v[18:19], v[10:11], v[18:19]
	v_add_f64 v[10:11], v[34:35], v[46:47]
	v_mov_b64_e32 v[150:151], v[8:9]
	v_mul_f64 v[32:33], v[142:143], s[16:17]
	v_mul_f64 v[34:35], v[144:145], s[16:17]
	;; [unrolled: 1-line block ×5, first 2 shown]
	v_fmac_f64_e32 v[150:151], s[22:23], v[44:45]
	v_mov_b64_e32 v[44:45], v[10:11]
	v_mul_f64 v[144:145], v[148:149], s[20:21]
	v_mul_f64 v[146:147], v[40:41], s[18:19]
	;; [unrolled: 1-line block ×3, first 2 shown]
	v_fmac_f64_e32 v[44:45], s[22:23], v[46:47]
	v_fma_f64 v[46:47], v[130:131], s[24:25], -v[52:53]
	v_fma_f64 v[52:53], v[140:141], s[24:25], -v[54:55]
	;; [unrolled: 1-line block ×3, first 2 shown]
	v_fmac_f64_e32 v[32:33], s[6:7], v[28:29]
	v_fma_f64 v[28:29], v[140:141], s[26:27], -v[34:35]
	v_fmac_f64_e32 v[34:35], s[6:7], v[30:31]
	v_fma_f64 v[30:31], v[40:41], s[18:19], -v[142:143]
	v_fmac_f64_e32 v[142:143], s[28:29], v[48:49]
	v_fma_f64 v[40:41], v[42:43], s[18:19], -v[144:145]
	v_fmac_f64_e32 v[144:145], s[28:29], v[50:51]
	v_fma_f64 v[42:43], v[48:49], s[34:35], -v[146:147]
	v_fma_f64 v[48:49], v[50:51], s[34:35], -v[148:149]
	v_add_f64 v[50:51], v[52:53], v[44:45]
	v_fmac_f64_e32 v[30:31], s[30:31], v[16:17]
	v_add_f64 v[32:33], v[32:33], v[150:151]
	v_add_f64 v[34:35], v[34:35], v[44:45]
	;; [unrolled: 1-line block ×4, first 2 shown]
	v_fmac_f64_e32 v[142:143], s[30:31], v[16:17]
	v_fmac_f64_e32 v[144:145], s[30:31], v[18:19]
	;; [unrolled: 1-line block ×5, first 2 shown]
	v_add_f64 v[168:169], v[30:31], v[50:51]
	v_add_f64 v[172:173], v[50:51], -v[30:31]
	v_add_f64 v[18:19], v[198:199], v[22:23]
	v_add_f64 v[30:31], v[202:203], v[214:215]
	;; [unrolled: 1-line block ×4, first 2 shown]
	v_add_f64 v[160:161], v[34:35], -v[142:143]
	v_add_f64 v[164:165], v[28:29], -v[42:43]
	v_add_f64 v[166:167], v[46:47], -v[40:41]
	v_add_f64 v[170:171], v[40:41], v[46:47]
	v_add_f64 v[176:177], v[42:43], v[28:29]
	v_add_f64 v[178:179], v[32:33], -v[144:145]
	v_add_f64 v[180:181], v[142:143], v[34:35]
	v_add_f64 v[16:17], v[196:197], v[20:21]
	;; [unrolled: 1-line block ×3, first 2 shown]
	v_add_f64 v[32:33], v[200:201], -v[212:213]
	v_add_f64 v[34:35], v[202:203], -v[214:215]
	v_add_f64 v[40:41], v[204:205], v[208:209]
	v_add_f64 v[42:43], v[206:207], v[210:211]
	v_add_f64 v[44:45], v[208:209], -v[204:205]
	v_add_f64 v[46:47], v[210:211], -v[206:207]
	v_add_f64 v[50:51], v[30:31], v[18:19]
	v_add_f64 v[162:163], v[48:49], v[52:53]
	v_add_f64 v[174:175], v[52:53], -v[48:49]
	v_add_f64 v[20:21], v[196:197], -v[20:21]
	;; [unrolled: 1-line block ×3, first 2 shown]
	v_add_f64 v[48:49], v[28:29], v[16:17]
	v_add_f64 v[52:53], v[28:29], -v[16:17]
	v_add_f64 v[54:55], v[30:31], -v[18:19]
	;; [unrolled: 1-line block ×5, first 2 shown]
	v_add_f64 v[140:141], v[46:47], v[34:35]
	v_add_f64 v[142:143], v[44:45], -v[32:33]
	v_add_f64 v[42:43], v[42:43], v[50:51]
	v_add_f64 v[16:17], v[16:17], -v[40:41]
	;; [unrolled: 2-line block ×3, first 2 shown]
	v_add_f64 v[44:45], v[20:21], -v[44:45]
	v_add_f64 v[46:47], v[22:23], -v[46:47]
	;; [unrolled: 1-line block ×3, first 2 shown]
	v_add_f64 v[40:41], v[40:41], v[48:49]
	v_add_f64 v[50:51], v[140:141], v[22:23]
	;; [unrolled: 1-line block ×3, first 2 shown]
	v_mul_f64 v[18:19], v[18:19], s[16:17]
	v_mul_f64 v[22:23], v[28:29], s[6:7]
	;; [unrolled: 1-line block ×3, first 2 shown]
	v_add_f64 v[32:33], v[32:33], -v[20:21]
	v_add_f64 v[48:49], v[130:131], v[20:21]
	v_add_f64 v[12:13], v[12:13], v[40:41]
	v_mul_f64 v[16:17], v[16:17], s[16:17]
	v_mul_f64 v[130:131], v[30:31], s[6:7]
	;; [unrolled: 1-line block ×3, first 2 shown]
	v_fma_f64 v[42:43], s[22:23], v[42:43], v[14:15]
	v_fma_f64 v[146:147], v[52:53], s[24:25], -v[22:23]
	v_fma_f64 v[150:151], v[54:55], s[26:27], -v[18:19]
	v_fmac_f64_e32 v[18:19], s[6:7], v[30:31]
	v_fma_f64 v[22:23], s[28:29], v[44:45], v[140:141]
	v_mul_f64 v[144:145], v[34:35], s[18:19]
	v_fma_f64 v[40:41], s[22:23], v[40:41], v[12:13]
	v_fma_f64 v[28:29], s[6:7], v[28:29], v[16:17]
	v_fma_f64 v[148:149], v[54:55], s[24:25], -v[130:131]
	v_fma_f64 v[54:55], v[34:35], s[18:19], -v[20:21]
	v_fmac_f64_e32 v[20:21], s[28:29], v[46:47]
	v_add_f64 v[34:35], v[18:19], v[42:43]
	v_fmac_f64_e32 v[22:23], s[30:31], v[48:49]
	v_mul_f64 v[142:143], v[32:33], s[18:19]
	v_fma_f64 v[16:17], v[52:53], s[26:27], -v[16:17]
	v_fma_f64 v[140:141], v[32:33], s[18:19], -v[140:141]
	v_add_f64 v[32:33], v[28:29], v[40:41]
	v_fmac_f64_e32 v[20:21], s[30:31], v[50:51]
	v_add_f64 v[18:19], v[22:23], v[34:35]
	v_fma_f64 v[130:131], v[44:45], s[34:35], -v[142:143]
	v_add_f64 v[142:143], v[16:17], v[40:41]
	v_add_f64 v[16:17], v[32:33], -v[20:21]
	v_accvgpr_write_b32 a23, v19
	v_accvgpr_write_b32 a22, v18
	;; [unrolled: 1-line block ×4, first 2 shown]
	v_mov_b32_e32 v16, 0x13b
	v_cndmask_b32_e32 v16, 0, v16, vcc
	v_add_lshl_u32 v16, v129, v16, 4
	ds_write_b128 v16, v[0:3]
	ds_write_b128 v16, v[4:7] offset:720
	ds_write_b128 v16, v[24:27] offset:1440
	;; [unrolled: 1-line block ×5, first 2 shown]
	v_mul_u32_u24_e32 v0, 0x13b, v133
	v_fma_f64 v[52:53], v[46:47], s[34:35], -v[144:145]
	v_add_lshl_u32 v0, v0, v135, 4
	v_add_f64 v[152:153], v[146:147], v[40:41]
	v_add_f64 v[156:157], v[148:149], v[42:43]
	;; [unrolled: 1-line block ×3, first 2 shown]
	v_fmac_f64_e32 v[140:141], s[30:31], v[48:49]
	v_fmac_f64_e32 v[54:55], s[30:31], v[50:51]
	;; [unrolled: 1-line block ×4, first 2 shown]
	ds_write_b128 v16, v[100:103] offset:4320
	ds_write_b128 v0, v[36:39]
	ds_write_b128 v0, v[104:107] offset:720
	ds_write_b128 v0, v[108:111] offset:1440
	;; [unrolled: 1-line block ×5, first 2 shown]
	v_accvgpr_write_b32 a188, v0
	ds_write_b128 v0, v[124:127] offset:4320
	v_mul_u32_u24_e32 v0, 0x13b, v137
	v_add_f64 v[144:145], v[54:55], v[152:153]
	v_add_f64 v[146:147], v[156:157], -v[140:141]
	v_add_f64 v[148:149], v[142:143], -v[52:53]
	v_add_f64 v[150:151], v[130:131], v[154:155]
	v_accvgpr_write_b32 a187, v16
	v_add_lshl_u32 v129, v0, v139, 4
	ds_write_b128 v129, v[8:11]
	ds_write_b128 v129, v[158:161] offset:720
	ds_write_b128 v129, v[162:165] offset:1440
	;; [unrolled: 1-line block ×6, first 2 shown]
	s_and_saveexec_b64 s[6:7], s[2:3]
	s_cbranch_execz .LBB0_15
; %bb.14:
	v_lshlrev_b32_e32 v16, 4, v216
	v_add_f64 v[2:3], v[140:141], v[156:157]
	v_add_f64 v[0:1], v[152:153], -v[54:55]
	v_add_f64 v[6:7], v[154:155], -v[130:131]
	v_add_f64 v[4:5], v[52:53], v[142:143]
	v_add_f64 v[10:11], v[34:35], -v[22:23]
	v_add_f64 v[8:9], v[20:21], v[32:33]
	ds_write_b128 v16, v[12:15] offset:20160
	ds_write_b128 v16, v[8:11] offset:20880
	;; [unrolled: 1-line block ×7, first 2 shown]
.LBB0_15:
	s_or_b64 exec, exec, s[6:7]
	v_accvgpr_read_b32 v0, a2
	v_lshlrev_b32_e32 v8, 4, v0
	v_mov_b32_e32 v9, 0
	v_lshl_add_u64 v[236:237], s[14:15], 0, v[8:9]
	v_lshlrev_b32_e32 v8, 6, v0
	v_lshl_add_u64 v[0:1], s[0:1], 0, v[8:9]
	s_movk_i32 s14, 0x1000
	v_add_co_u32_e32 v2, vcc, s14, v0
	s_mov_b64 s[6:7], 0x1380
	s_nop 0
	v_addc_co_u32_e32 v3, vcc, 0, v1, vcc
	v_lshl_add_u64 v[10:11], v[0:1], 0, s[6:7]
	v_lshlrev_b32_e32 v8, 6, v138
	s_waitcnt lgkmcnt(0)
	; wave barrier
	s_waitcnt lgkmcnt(0)
	global_load_dwordx4 v[88:91], v[2:3], off offset:896
	global_load_dwordx4 v[4:7], v[10:11], off offset:16
	s_nop 0
	global_load_dwordx4 v[0:3], v[10:11], off offset:32
	global_load_dwordx4 v[92:95], v[10:11], off offset:48
	v_lshl_add_u64 v[10:11], s[0:1], 0, v[8:9]
	v_add_co_u32_e32 v12, vcc, s14, v10
	v_lshlrev_b32_e32 v8, 6, v136
	s_nop 0
	v_addc_co_u32_e32 v13, vcc, 0, v11, vcc
	global_load_dwordx4 v[24:27], v[12:13], off offset:896
	v_lshl_add_u64 v[10:11], v[10:11], 0, s[6:7]
	global_load_dwordx4 v[12:15], v[10:11], off offset:32
	global_load_dwordx4 v[36:39], v[10:11], off offset:16
	ds_read_b128 v[168:171], v128
	ds_read_b128 v[156:159], v128 offset:1008
	ds_read_b128 v[20:23], v128 offset:10080
	;; [unrolled: 1-line block ×3, first 2 shown]
	global_load_dwordx4 v[32:35], v[10:11], off offset:48
	v_lshl_add_u64 v[10:11], s[0:1], 0, v[8:9]
	v_add_co_u32_e32 v16, vcc, s14, v10
	v_lshlrev_b32_e32 v8, 6, v134
	s_nop 0
	v_addc_co_u32_e32 v17, vcc, 0, v11, vcc
	global_load_dwordx4 v[100:103], v[16:17], off offset:896
	v_lshl_add_u64 v[10:11], v[10:11], 0, s[6:7]
	global_load_dwordx4 v[96:99], v[10:11], off offset:32
	global_load_dwordx4 v[108:111], v[10:11], off offset:16
	ds_read_b128 v[160:163], v128 offset:20160
	ds_read_b128 v[164:167], v128 offset:21168
	;; [unrolled: 1-line block ×4, first 2 shown]
	global_load_dwordx4 v[104:107], v[10:11], off offset:48
	v_lshl_add_u64 v[10:11], s[0:1], 0, v[8:9]
	v_add_co_u32_e32 v16, vcc, s14, v10
	v_lshlrev_b32_e32 v8, 6, v132
	s_nop 0
	v_addc_co_u32_e32 v17, vcc, 0, v11, vcc
	global_load_dwordx4 v[112:115], v[16:17], off offset:896
	v_lshl_add_u64 v[10:11], v[10:11], 0, s[6:7]
	ds_read_b128 v[192:195], v128 offset:16128
	ds_read_b128 v[196:199], v128 offset:17136
	global_load_dwordx4 v[116:119], v[10:11], off offset:32
	global_load_dwordx4 v[124:127], v[10:11], off offset:16
	v_lshl_add_u64 v[8:9], s[0:1], 0, v[8:9]
	ds_read_b128 v[180:183], v128 offset:2016
	ds_read_b128 v[176:179], v128 offset:3024
	;; [unrolled: 1-line block ×4, first 2 shown]
	global_load_dwordx4 v[120:123], v[10:11], off offset:48
	v_add_co_u32_e32 v10, vcc, s14, v8
	v_lshl_add_u64 v[16:17], v[8:9], 0, s[6:7]
	s_nop 0
	v_addc_co_u32_e32 v11, vcc, 0, v9, vcc
	global_load_dwordx4 v[52:55], v[10:11], off offset:896
	global_load_dwordx4 v[132:135], v[16:17], off offset:32
	;; [unrolled: 1-line block ×3, first 2 shown]
	ds_read_b128 v[8:11], v128 offset:22176
	ds_read_b128 v[242:245], v128 offset:23184
	;; [unrolled: 1-line block ×8, first 2 shown]
	global_load_dwordx4 v[136:139], v[16:17], off offset:48
	ds_read_b128 v[250:253], v128 offset:18144
	ds_read_b128 v[44:47], v128 offset:19152
	;; [unrolled: 1-line block ×3, first 2 shown]
	s_mov_b32 s6, 0x134454ff
	s_mov_b32 s7, 0x3fee6f0e
	;; [unrolled: 1-line block ×10, first 2 shown]
	s_waitcnt vmcnt(18) lgkmcnt(14)
	v_mul_f64 v[130:131], v[22:23], v[6:7]
	s_waitcnt lgkmcnt(8)
	v_mul_f64 v[16:17], v[202:203], v[90:91]
	v_fma_f64 v[16:17], v[200:201], v[88:89], -v[16:17]
	v_mul_f64 v[18:19], v[200:201], v[90:91]
	v_fma_f64 v[200:201], v[20:21], v[4:5], -v[130:131]
	v_mul_f64 v[220:221], v[20:21], v[6:7]
	s_waitcnt vmcnt(17) lgkmcnt(4)
	v_mul_f64 v[20:21], v[206:207], v[2:3]
	v_fma_f64 v[56:57], v[204:205], v[0:1], -v[20:21]
	s_waitcnt vmcnt(16)
	v_mul_f64 v[20:21], v[162:163], v[94:95]
	v_mul_f64 v[58:59], v[204:205], v[2:3]
	v_fma_f64 v[204:205], v[160:161], v[92:93], -v[20:21]
	s_waitcnt vmcnt(15)
	v_mul_f64 v[20:21], v[186:187], v[26:27]
	v_fmac_f64_e32 v[18:19], v[202:203], v[88:89]
	v_fma_f64 v[202:203], v[184:185], v[24:25], -v[20:21]
	s_waitcnt vmcnt(13)
	v_mul_f64 v[20:21], v[154:155], v[38:39]
	v_fmac_f64_e32 v[58:59], v[206:207], v[0:1]
	v_fma_f64 v[206:207], v[152:153], v[36:37], -v[20:21]
	v_mul_f64 v[20:21], v[194:195], v[14:15]
	v_fma_f64 v[216:217], v[192:193], v[12:13], -v[20:21]
	s_waitcnt vmcnt(12)
	v_mul_f64 v[20:21], v[166:167], v[34:35]
	v_fma_f64 v[62:63], v[164:165], v[32:33], -v[20:21]
	s_waitcnt vmcnt(11)
	;; [unrolled: 3-line block ×3, first 2 shown]
	v_mul_f64 v[20:21], v[226:227], v[110:111]
	v_fma_f64 v[222:223], v[224:225], v[108:109], -v[20:21]
	v_mul_f64 v[20:21], v[198:199], v[98:99]
	v_fma_f64 v[230:231], v[196:197], v[96:97], -v[20:21]
	s_waitcnt vmcnt(8)
	v_mul_f64 v[20:21], v[10:11], v[106:107]
	v_fma_f64 v[232:233], v[8:9], v[104:105], -v[20:21]
	v_mul_f64 v[228:229], v[8:9], v[106:107]
	v_mul_f64 v[210:211], v[152:153], v[38:39]
	s_waitcnt vmcnt(7)
	v_mul_f64 v[8:9], v[248:249], v[114:115]
	v_fma_f64 v[234:235], v[246:247], v[112:113], -v[8:9]
	v_mul_f64 v[152:153], v[246:247], v[114:115]
	s_waitcnt vmcnt(5)
	v_mul_f64 v[8:9], v[240:241], v[126:127]
	v_fma_f64 v[254:255], v[238:239], v[124:125], -v[8:9]
	s_waitcnt lgkmcnt(2)
	v_mul_f64 v[8:9], v[252:253], v[118:119]
	v_fma_f64 v[130:131], v[250:251], v[116:117], -v[8:9]
	s_waitcnt vmcnt(4)
	v_mul_f64 v[8:9], v[244:245], v[122:123]
	v_mul_f64 v[250:251], v[250:251], v[118:119]
	v_fma_f64 v[20:21], v[242:243], v[120:121], -v[8:9]
	v_fmac_f64_e32 v[250:251], v[252:253], v[116:117]
	v_mul_f64 v[252:253], v[242:243], v[122:123]
	s_waitcnt vmcnt(3)
	v_mul_f64 v[8:9], v[30:31], v[54:55]
	v_fma_f64 v[242:243], v[28:29], v[52:53], -v[8:9]
	v_mul_f64 v[8:9], v[28:29], v[54:55]
	s_waitcnt vmcnt(2) lgkmcnt(1)
	v_mul_f64 v[28:29], v[46:47], v[134:135]
	v_fma_f64 v[246:247], v[44:45], v[132:133], -v[28:29]
	s_waitcnt vmcnt(0) lgkmcnt(0)
	v_mul_f64 v[28:29], v[50:51], v[138:139]
	v_fmac_f64_e32 v[152:153], v[248:249], v[112:113]
	v_fma_f64 v[248:249], v[48:49], v[136:137], -v[28:29]
	v_add_f64 v[28:29], v[168:169], v[16:17]
	v_add_f64 v[28:29], v[28:29], v[200:201]
	v_mul_f64 v[60:61], v[160:161], v[94:95]
	v_add_f64 v[28:29], v[28:29], v[56:57]
	v_fmac_f64_e32 v[60:61], v[162:163], v[92:93]
	v_mul_f64 v[214:215], v[164:165], v[34:35]
	v_fmac_f64_e32 v[228:229], v[10:11], v[104:105]
	v_mul_f64 v[10:11], v[42:43], v[142:143]
	v_add_f64 v[164:165], v[28:29], v[204:205]
	v_add_f64 v[28:29], v[200:201], v[56:57]
	v_fmac_f64_e32 v[220:221], v[22:23], v[4:5]
	v_fmac_f64_e32 v[252:253], v[244:245], v[120:121]
	v_fma_f64 v[244:245], v[40:41], v[140:141], -v[10:11]
	v_mul_f64 v[10:11], v[40:41], v[142:143]
	v_fma_f64 v[160:161], -0.5, v[28:29], v[168:169]
	v_add_f64 v[28:29], v[18:19], -v[60:61]
	v_mul_f64 v[208:209], v[184:185], v[26:27]
	v_fmac_f64_e32 v[8:9], v[30:31], v[52:53]
	v_fmac_f64_e32 v[10:11], v[42:43], v[140:141]
	v_fma_f64 v[184:185], s[6:7], v[28:29], v[160:161]
	v_add_f64 v[30:31], v[220:221], -v[58:59]
	v_add_f64 v[40:41], v[16:17], -v[200:201]
	;; [unrolled: 1-line block ×3, first 2 shown]
	v_fmac_f64_e32 v[160:161], s[16:17], v[28:29]
	v_fmac_f64_e32 v[184:185], s[0:1], v[30:31]
	v_add_f64 v[40:41], v[40:41], v[42:43]
	v_fmac_f64_e32 v[160:161], s[18:19], v[30:31]
	v_fmac_f64_e32 v[184:185], s[14:15], v[40:41]
	;; [unrolled: 1-line block ×3, first 2 shown]
	v_add_f64 v[40:41], v[16:17], v[204:205]
	v_fmac_f64_e32 v[168:169], -0.5, v[40:41]
	v_mul_f64 v[22:23], v[188:189], v[102:103]
	v_fma_f64 v[188:189], s[16:17], v[30:31], v[168:169]
	v_fmac_f64_e32 v[168:169], s[6:7], v[30:31]
	v_fmac_f64_e32 v[188:189], s[0:1], v[28:29]
	;; [unrolled: 1-line block ×3, first 2 shown]
	v_add_f64 v[28:29], v[170:171], v[18:19]
	v_add_f64 v[28:29], v[28:29], v[220:221]
	;; [unrolled: 1-line block ×3, first 2 shown]
	v_fmac_f64_e32 v[214:215], v[166:167], v[32:33]
	v_add_f64 v[40:41], v[200:201], -v[16:17]
	v_add_f64 v[42:43], v[56:57], -v[204:205]
	v_add_f64 v[166:167], v[28:29], v[60:61]
	v_add_f64 v[28:29], v[220:221], v[58:59]
	;; [unrolled: 1-line block ×3, first 2 shown]
	v_fma_f64 v[162:163], -0.5, v[28:29], v[170:171]
	v_add_f64 v[16:17], v[16:17], -v[204:205]
	v_fmac_f64_e32 v[208:209], v[186:187], v[24:25]
	v_fmac_f64_e32 v[188:189], s[14:15], v[40:41]
	v_fmac_f64_e32 v[168:169], s[14:15], v[40:41]
	v_fma_f64 v[186:187], s[16:17], v[16:17], v[162:163]
	v_add_f64 v[28:29], v[200:201], -v[56:57]
	v_add_f64 v[30:31], v[18:19], -v[220:221]
	;; [unrolled: 1-line block ×3, first 2 shown]
	v_fmac_f64_e32 v[162:163], s[6:7], v[16:17]
	v_fmac_f64_e32 v[186:187], s[18:19], v[28:29]
	v_add_f64 v[30:31], v[30:31], v[40:41]
	v_fmac_f64_e32 v[162:163], s[0:1], v[28:29]
	v_fmac_f64_e32 v[186:187], s[14:15], v[30:31]
	;; [unrolled: 1-line block ×3, first 2 shown]
	v_add_f64 v[30:31], v[18:19], v[60:61]
	v_fmac_f64_e32 v[170:171], -0.5, v[30:31]
	v_fmac_f64_e32 v[22:23], v[190:191], v[100:101]
	v_fma_f64 v[190:191], s[6:7], v[28:29], v[170:171]
	v_fmac_f64_e32 v[170:171], s[16:17], v[28:29]
	v_fmac_f64_e32 v[190:191], s[18:19], v[16:17]
	;; [unrolled: 1-line block ×3, first 2 shown]
	v_add_f64 v[16:17], v[156:157], v[202:203]
	v_add_f64 v[16:17], v[16:17], v[206:207]
	v_mul_f64 v[224:225], v[224:225], v[110:111]
	v_add_f64 v[16:17], v[16:17], v[216:217]
	v_mul_f64 v[212:213], v[192:193], v[14:15]
	v_fmac_f64_e32 v[224:225], v[226:227], v[108:109]
	v_mul_f64 v[226:227], v[196:197], v[98:99]
	v_add_f64 v[18:19], v[220:221], -v[18:19]
	v_add_f64 v[30:31], v[58:59], -v[60:61]
	v_add_f64 v[196:197], v[16:17], v[62:63]
	v_add_f64 v[16:17], v[206:207], v[216:217]
	v_fmac_f64_e32 v[210:211], v[154:155], v[36:37]
	v_fmac_f64_e32 v[212:213], v[194:195], v[12:13]
	v_add_f64 v[18:19], v[18:19], v[30:31]
	v_fma_f64 v[192:193], -0.5, v[16:17], v[156:157]
	v_add_f64 v[16:17], v[208:209], -v[214:215]
	v_fmac_f64_e32 v[190:191], s[14:15], v[18:19]
	v_fmac_f64_e32 v[170:171], s[14:15], v[18:19]
	v_fma_f64 v[200:201], s[6:7], v[16:17], v[192:193]
	v_add_f64 v[18:19], v[210:211], -v[212:213]
	v_add_f64 v[28:29], v[202:203], -v[206:207]
	v_add_f64 v[30:31], v[62:63], -v[216:217]
	v_fmac_f64_e32 v[192:193], s[16:17], v[16:17]
	v_fmac_f64_e32 v[200:201], s[0:1], v[18:19]
	v_add_f64 v[28:29], v[28:29], v[30:31]
	v_fmac_f64_e32 v[192:193], s[18:19], v[18:19]
	v_fmac_f64_e32 v[200:201], s[14:15], v[28:29]
	;; [unrolled: 1-line block ×3, first 2 shown]
	v_add_f64 v[28:29], v[202:203], v[62:63]
	v_fmac_f64_e32 v[156:157], -0.5, v[28:29]
	v_fma_f64 v[204:205], s[16:17], v[18:19], v[156:157]
	v_fmac_f64_e32 v[156:157], s[6:7], v[18:19]
	v_fmac_f64_e32 v[204:205], s[0:1], v[16:17]
	;; [unrolled: 1-line block ×3, first 2 shown]
	v_add_f64 v[16:17], v[158:159], v[208:209]
	v_add_f64 v[16:17], v[16:17], v[210:211]
	;; [unrolled: 1-line block ×3, first 2 shown]
	v_fmac_f64_e32 v[226:227], v[198:199], v[96:97]
	v_add_f64 v[28:29], v[206:207], -v[202:203]
	v_add_f64 v[30:31], v[216:217], -v[62:63]
	v_add_f64 v[198:199], v[16:17], v[214:215]
	v_add_f64 v[16:17], v[210:211], v[212:213]
	v_add_f64 v[28:29], v[28:29], v[30:31]
	v_fma_f64 v[194:195], -0.5, v[16:17], v[158:159]
	v_add_f64 v[16:17], v[202:203], -v[62:63]
	v_fmac_f64_e32 v[204:205], s[14:15], v[28:29]
	v_fmac_f64_e32 v[156:157], s[14:15], v[28:29]
	v_fma_f64 v[202:203], s[16:17], v[16:17], v[194:195]
	v_add_f64 v[18:19], v[206:207], -v[216:217]
	v_add_f64 v[28:29], v[208:209], -v[210:211]
	v_add_f64 v[30:31], v[214:215], -v[212:213]
	v_fmac_f64_e32 v[194:195], s[6:7], v[16:17]
	v_fmac_f64_e32 v[202:203], s[18:19], v[18:19]
	v_add_f64 v[28:29], v[28:29], v[30:31]
	v_fmac_f64_e32 v[194:195], s[0:1], v[18:19]
	v_fmac_f64_e32 v[202:203], s[14:15], v[28:29]
	v_fmac_f64_e32 v[194:195], s[14:15], v[28:29]
	v_add_f64 v[28:29], v[208:209], v[214:215]
	v_fmac_f64_e32 v[158:159], -0.5, v[28:29]
	v_fma_f64 v[206:207], s[6:7], v[18:19], v[158:159]
	v_fmac_f64_e32 v[158:159], s[16:17], v[18:19]
	v_fmac_f64_e32 v[206:207], s[18:19], v[16:17]
	v_fmac_f64_e32 v[158:159], s[0:1], v[16:17]
	v_add_f64 v[16:17], v[180:181], v[218:219]
	v_add_f64 v[16:17], v[16:17], v[222:223]
	v_add_f64 v[16:17], v[16:17], v[230:231]
	v_add_f64 v[28:29], v[210:211], -v[208:209]
	v_add_f64 v[30:31], v[212:213], -v[214:215]
	v_add_f64 v[212:213], v[16:17], v[232:233]
	v_add_f64 v[16:17], v[222:223], v[230:231]
	v_add_f64 v[28:29], v[28:29], v[30:31]
	v_fma_f64 v[208:209], -0.5, v[16:17], v[180:181]
	v_add_f64 v[16:17], v[22:23], -v[228:229]
	v_fmac_f64_e32 v[206:207], s[14:15], v[28:29]
	v_fmac_f64_e32 v[158:159], s[14:15], v[28:29]
	v_fma_f64 v[216:217], s[6:7], v[16:17], v[208:209]
	v_add_f64 v[18:19], v[224:225], -v[226:227]
	v_add_f64 v[28:29], v[218:219], -v[222:223]
	v_add_f64 v[30:31], v[232:233], -v[230:231]
	v_fmac_f64_e32 v[208:209], s[16:17], v[16:17]
	v_fmac_f64_e32 v[216:217], s[0:1], v[18:19]
	v_add_f64 v[28:29], v[28:29], v[30:31]
	v_fmac_f64_e32 v[208:209], s[18:19], v[18:19]
	v_fmac_f64_e32 v[216:217], s[14:15], v[28:29]
	v_fmac_f64_e32 v[208:209], s[14:15], v[28:29]
	v_add_f64 v[28:29], v[218:219], v[232:233]
	v_fmac_f64_e32 v[180:181], -0.5, v[28:29]
	v_fma_f64 v[220:221], s[16:17], v[18:19], v[180:181]
	v_fmac_f64_e32 v[180:181], s[6:7], v[18:19]
	v_fmac_f64_e32 v[220:221], s[0:1], v[16:17]
	v_fmac_f64_e32 v[180:181], s[18:19], v[16:17]
	v_add_f64 v[16:17], v[182:183], v[22:23]
	v_add_f64 v[16:17], v[16:17], v[224:225]
	v_add_f64 v[16:17], v[16:17], v[226:227]
	;; [unrolled: 28-line block ×3, first 2 shown]
	v_mul_f64 v[154:155], v[238:239], v[126:127]
	v_add_f64 v[22:23], v[224:225], -v[22:23]
	v_add_f64 v[28:29], v[226:227], -v[228:229]
	v_add_f64 v[228:229], v[16:17], v[20:21]
	v_add_f64 v[16:17], v[254:255], v[130:131]
	v_fmac_f64_e32 v[154:155], v[240:241], v[124:125]
	v_add_f64 v[22:23], v[22:23], v[28:29]
	v_fma_f64 v[224:225], -0.5, v[16:17], v[176:177]
	v_add_f64 v[16:17], v[152:153], -v[252:253]
	v_fmac_f64_e32 v[222:223], s[14:15], v[22:23]
	v_fmac_f64_e32 v[182:183], s[14:15], v[22:23]
	v_fma_f64 v[232:233], s[6:7], v[16:17], v[224:225]
	v_add_f64 v[18:19], v[154:155], -v[250:251]
	v_add_f64 v[22:23], v[234:235], -v[254:255]
	;; [unrolled: 1-line block ×3, first 2 shown]
	v_fmac_f64_e32 v[224:225], s[16:17], v[16:17]
	v_fmac_f64_e32 v[232:233], s[0:1], v[18:19]
	v_add_f64 v[22:23], v[22:23], v[28:29]
	v_fmac_f64_e32 v[224:225], s[18:19], v[18:19]
	v_fmac_f64_e32 v[232:233], s[14:15], v[22:23]
	;; [unrolled: 1-line block ×3, first 2 shown]
	v_add_f64 v[22:23], v[234:235], v[20:21]
	v_fmac_f64_e32 v[176:177], -0.5, v[22:23]
	v_fma_f64 v[28:29], s[16:17], v[18:19], v[176:177]
	v_fmac_f64_e32 v[176:177], s[6:7], v[18:19]
	v_fmac_f64_e32 v[28:29], s[0:1], v[16:17]
	v_fmac_f64_e32 v[176:177], s[18:19], v[16:17]
	v_add_f64 v[16:17], v[178:179], v[152:153]
	v_add_f64 v[16:17], v[16:17], v[154:155]
	;; [unrolled: 1-line block ×3, first 2 shown]
	v_add_f64 v[22:23], v[254:255], -v[234:235]
	v_add_f64 v[30:31], v[130:131], -v[20:21]
	v_add_f64 v[230:231], v[16:17], v[252:253]
	v_add_f64 v[16:17], v[154:155], v[250:251]
	;; [unrolled: 1-line block ×3, first 2 shown]
	v_fma_f64 v[226:227], -0.5, v[16:17], v[178:179]
	v_add_f64 v[16:17], v[234:235], -v[20:21]
	v_fmac_f64_e32 v[28:29], s[14:15], v[22:23]
	v_fmac_f64_e32 v[176:177], s[14:15], v[22:23]
	v_fma_f64 v[234:235], s[16:17], v[16:17], v[226:227]
	v_add_f64 v[18:19], v[254:255], -v[130:131]
	v_add_f64 v[20:21], v[152:153], -v[154:155]
	;; [unrolled: 1-line block ×3, first 2 shown]
	v_fmac_f64_e32 v[226:227], s[6:7], v[16:17]
	v_fmac_f64_e32 v[234:235], s[18:19], v[18:19]
	v_add_f64 v[20:21], v[20:21], v[22:23]
	v_fmac_f64_e32 v[226:227], s[0:1], v[18:19]
	v_fmac_f64_e32 v[234:235], s[14:15], v[20:21]
	;; [unrolled: 1-line block ×3, first 2 shown]
	v_add_f64 v[20:21], v[152:153], v[252:253]
	v_fmac_f64_e32 v[178:179], -0.5, v[20:21]
	v_fma_f64 v[30:31], s[6:7], v[18:19], v[178:179]
	v_fmac_f64_e32 v[178:179], s[16:17], v[18:19]
	v_fmac_f64_e32 v[30:31], s[18:19], v[16:17]
	v_fmac_f64_e32 v[178:179], s[0:1], v[16:17]
	v_add_f64 v[16:17], v[172:173], v[242:243]
	v_add_f64 v[20:21], v[154:155], -v[152:153]
	v_add_f64 v[22:23], v[250:251], -v[252:253]
	v_add_f64 v[16:17], v[16:17], v[244:245]
	v_mul_f64 v[240:241], v[48:49], v[138:139]
	v_add_f64 v[20:21], v[20:21], v[22:23]
	v_add_f64 v[16:17], v[16:17], v[246:247]
	v_mul_f64 v[238:239], v[44:45], v[134:135]
	v_fmac_f64_e32 v[240:241], v[50:51], v[136:137]
	v_fmac_f64_e32 v[30:31], s[14:15], v[20:21]
	;; [unrolled: 1-line block ×3, first 2 shown]
	v_add_f64 v[20:21], v[16:17], v[248:249]
	v_add_f64 v[16:17], v[244:245], v[246:247]
	v_fmac_f64_e32 v[238:239], v[46:47], v[132:133]
	v_fma_f64 v[152:153], -0.5, v[16:17], v[172:173]
	v_add_f64 v[16:17], v[8:9], -v[240:241]
	v_fma_f64 v[40:41], s[6:7], v[16:17], v[152:153]
	v_add_f64 v[18:19], v[10:11], -v[238:239]
	v_add_f64 v[22:23], v[242:243], -v[244:245]
	;; [unrolled: 1-line block ×3, first 2 shown]
	v_fmac_f64_e32 v[152:153], s[16:17], v[16:17]
	v_fmac_f64_e32 v[40:41], s[0:1], v[18:19]
	v_add_f64 v[22:23], v[22:23], v[42:43]
	v_fmac_f64_e32 v[152:153], s[18:19], v[18:19]
	v_fmac_f64_e32 v[40:41], s[14:15], v[22:23]
	;; [unrolled: 1-line block ×3, first 2 shown]
	v_add_f64 v[22:23], v[242:243], v[248:249]
	v_fmac_f64_e32 v[172:173], -0.5, v[22:23]
	v_fma_f64 v[44:45], s[16:17], v[18:19], v[172:173]
	v_fmac_f64_e32 v[172:173], s[6:7], v[18:19]
	v_fmac_f64_e32 v[44:45], s[0:1], v[16:17]
	;; [unrolled: 1-line block ×3, first 2 shown]
	v_add_f64 v[16:17], v[174:175], v[8:9]
	v_add_f64 v[22:23], v[244:245], -v[242:243]
	v_add_f64 v[42:43], v[246:247], -v[248:249]
	v_add_f64 v[16:17], v[16:17], v[10:11]
	v_add_f64 v[22:23], v[22:23], v[42:43]
	;; [unrolled: 1-line block ×3, first 2 shown]
	v_fmac_f64_e32 v[44:45], s[14:15], v[22:23]
	v_fmac_f64_e32 v[172:173], s[14:15], v[22:23]
	v_add_f64 v[22:23], v[16:17], v[240:241]
	v_add_f64 v[16:17], v[10:11], v[238:239]
	v_fma_f64 v[154:155], -0.5, v[16:17], v[174:175]
	v_add_f64 v[16:17], v[242:243], -v[248:249]
	v_fma_f64 v[42:43], s[16:17], v[16:17], v[154:155]
	v_add_f64 v[18:19], v[244:245], -v[246:247]
	v_add_f64 v[46:47], v[8:9], -v[10:11]
	;; [unrolled: 1-line block ×3, first 2 shown]
	v_fmac_f64_e32 v[154:155], s[6:7], v[16:17]
	v_fmac_f64_e32 v[42:43], s[18:19], v[18:19]
	v_add_f64 v[46:47], v[46:47], v[48:49]
	v_fmac_f64_e32 v[154:155], s[0:1], v[18:19]
	v_fmac_f64_e32 v[42:43], s[14:15], v[46:47]
	;; [unrolled: 1-line block ×3, first 2 shown]
	v_add_f64 v[46:47], v[8:9], v[240:241]
	v_fmac_f64_e32 v[174:175], -0.5, v[46:47]
	v_fma_f64 v[46:47], s[6:7], v[18:19], v[174:175]
	v_add_f64 v[8:9], v[10:11], -v[8:9]
	v_add_f64 v[10:11], v[238:239], -v[240:241]
	v_fmac_f64_e32 v[174:175], s[16:17], v[18:19]
	v_fmac_f64_e32 v[46:47], s[18:19], v[16:17]
	v_add_f64 v[8:9], v[8:9], v[10:11]
	v_fmac_f64_e32 v[174:175], s[0:1], v[16:17]
	s_movk_i32 s6, 0x6000
	v_fmac_f64_e32 v[46:47], s[14:15], v[8:9]
	v_fmac_f64_e32 v[174:175], s[14:15], v[8:9]
	v_add_co_u32_e32 v8, vcc, s6, v236
	ds_write_b128 v128, v[164:167]
	ds_write_b128 v128, v[184:187] offset:5040
	ds_write_b128 v128, v[188:191] offset:10080
	;; [unrolled: 1-line block ×24, first 2 shown]
	v_addc_co_u32_e32 v9, vcc, 0, v237, vcc
	s_waitcnt lgkmcnt(0)
	; wave barrier
	s_waitcnt lgkmcnt(0)
	global_load_dwordx4 v[164:167], v[8:9], off offset:624
	s_mov_b32 s0, 0x8000
	v_add_co_u32_e32 v20, vcc, s0, v236
	s_mov_b32 s0, 0xa000
	s_nop 0
	v_addc_co_u32_e32 v21, vcc, 0, v237, vcc
	global_load_dwordx4 v[176:179], v[20:21], off offset:832
	v_add_co_u32_e32 v22, vcc, s0, v236
	s_mov_b64 s[0:1], 0x6270
	s_nop 0
	v_addc_co_u32_e32 v23, vcc, 0, v237, vcc
	global_load_dwordx4 v[188:191], v[22:23], off offset:1040
	v_lshl_add_u64 v[212:213], v[236:237], 0, s[0:1]
	global_load_dwordx4 v[192:195], v[212:213], off offset:1008
	global_load_dwordx4 v[184:187], v[20:21], off offset:1840
	;; [unrolled: 1-line block ×6, first 2 shown]
	ds_read_b128 v[28:31], v128
	ds_read_b128 v[8:11], v128 offset:1008
	ds_read_b128 v[44:47], v128 offset:8400
	;; [unrolled: 1-line block ×3, first 2 shown]
	global_load_dwordx4 v[156:159], v[212:213], off offset:3024
	s_mov_b32 s0, 0x9000
	ds_read_b128 v[48:51], v128 offset:10416
	s_waitcnt vmcnt(9) lgkmcnt(4)
	v_mul_f64 v[16:17], v[30:31], v[166:167]
	v_mul_f64 v[42:43], v[28:29], v[166:167]
	v_fma_f64 v[40:41], v[28:29], v[164:165], -v[16:17]
	v_fmac_f64_e32 v[42:43], v[30:31], v[164:165]
	ds_write_b128 v128, v[40:43]
	ds_read_b128 v[40:43], v128 offset:16800
	global_load_dwordx4 v[164:167], v[20:21], off offset:3856
	s_waitcnt vmcnt(9) lgkmcnt(4)
	v_mul_f64 v[16:17], v[46:47], v[178:179]
	v_mul_f64 v[30:31], v[44:45], v[178:179]
	v_fma_f64 v[28:29], v[44:45], v[176:177], -v[16:17]
	v_fmac_f64_e32 v[30:31], v[46:47], v[176:177]
	ds_write_b128 v128, v[28:31] offset:8400
	ds_read_b128 v[28:31], v128 offset:17808
	global_load_dwordx4 v[176:179], v[22:23], off offset:4064
	s_waitcnt vmcnt(9) lgkmcnt(2)
	v_mul_f64 v[16:17], v[42:43], v[190:191]
	v_mul_f64 v[22:23], v[40:41], v[190:191]
	v_fma_f64 v[20:21], v[40:41], v[188:189], -v[16:17]
	v_fmac_f64_e32 v[22:23], v[42:43], v[188:189]
	ds_write_b128 v128, v[20:23] offset:16800
	global_load_dwordx4 v[188:191], v[212:213], off offset:4032
	v_add_co_u32_e32 v20, vcc, s0, v236
	s_mov_b32 s0, 0xb000
	s_nop 0
	v_addc_co_u32_e32 v21, vcc, 0, v237, vcc
	global_load_dwordx4 v[196:199], v[20:21], off offset:768
	v_add_co_u32_e32 v22, vcc, s0, v236
	s_movk_i32 s0, 0x7000
	s_nop 0
	v_addc_co_u32_e32 v23, vcc, 0, v237, vcc
	global_load_dwordx4 v[200:203], v[22:23], off offset:976
	v_add_co_u32_e32 v18, vcc, s0, v236
	s_waitcnt vmcnt(11)
	v_mul_f64 v[16:17], v[10:11], v[194:195]
	v_addc_co_u32_e32 v19, vcc, 0, v237, vcc
	global_load_dwordx4 v[204:207], v[18:19], off offset:1568
	v_mul_f64 v[42:43], v[8:9], v[194:195]
	v_fma_f64 v[40:41], v[8:9], v[192:193], -v[16:17]
	v_fmac_f64_e32 v[42:43], v[10:11], v[192:193]
	global_load_dwordx4 v[192:195], v[20:21], off offset:1776
	s_waitcnt vmcnt(12)
	v_mul_f64 v[8:9], v[210:211], v[186:187]
	v_mul_f64 v[10:11], v[208:209], v[186:187]
	v_fma_f64 v[8:9], v[208:209], v[184:185], -v[8:9]
	v_fmac_f64_e32 v[10:11], v[210:211], v[184:185]
	global_load_dwordx4 v[184:187], v[22:23], off offset:1984
	ds_write_b128 v128, v[40:43] offset:1008
	ds_write_b128 v128, v[8:11] offset:9408
	s_waitcnt vmcnt(12) lgkmcnt(3)
	v_mul_f64 v[8:9], v[30:31], v[182:183]
	v_mul_f64 v[10:11], v[28:29], v[182:183]
	ds_read_b128 v[40:43], v128 offset:2016
	v_fma_f64 v[8:9], v[28:29], v[180:181], -v[8:9]
	v_fmac_f64_e32 v[10:11], v[30:31], v[180:181]
	global_load_dwordx4 v[28:31], v[18:19], off offset:2576
	ds_read_b128 v[208:211], v128 offset:18816
	ds_write_b128 v128, v[8:11] offset:17808
	ds_read_b128 v[8:11], v128 offset:3024
	s_waitcnt vmcnt(12) lgkmcnt(3)
	v_mul_f64 v[16:17], v[42:43], v[174:175]
	v_mul_f64 v[46:47], v[40:41], v[174:175]
	global_load_dwordx4 v[180:183], v[20:21], off offset:2784
	v_fma_f64 v[44:45], v[40:41], v[172:173], -v[16:17]
	v_fmac_f64_e32 v[46:47], v[42:43], v[172:173]
	ds_write_b128 v128, v[44:47] offset:2016
	ds_read_b128 v[40:43], v128 offset:11424
	s_waitcnt vmcnt(12)
	v_mul_f64 v[16:17], v[50:51], v[170:171]
	v_mul_f64 v[46:47], v[48:49], v[170:171]
	v_fma_f64 v[44:45], v[48:49], v[168:169], -v[16:17]
	global_load_dwordx4 v[170:173], v[22:23], off offset:2992
	v_fmac_f64_e32 v[46:47], v[50:51], v[168:169]
	ds_write_b128 v128, v[44:47] offset:10416
	ds_read_b128 v[44:47], v128 offset:19824
	global_load_dwordx4 v[48:51], v[18:19], off offset:3584
	s_waitcnt vmcnt(13) lgkmcnt(6)
	v_mul_f64 v[16:17], v[210:211], v[162:163]
	v_mul_f64 v[216:217], v[208:209], v[162:163]
	v_fma_f64 v[214:215], v[208:209], v[160:161], -v[16:17]
	v_fmac_f64_e32 v[216:217], v[210:211], v[160:161]
	global_load_dwordx4 v[160:163], v[20:21], off offset:3792
	ds_write_b128 v128, v[214:217] offset:18816
	global_load_dwordx4 v[20:23], v[22:23], off offset:4000
	s_waitcnt vmcnt(14) lgkmcnt(5)
	v_mul_f64 v[16:17], v[10:11], v[158:159]
	v_mul_f64 v[210:211], v[8:9], v[158:159]
	v_fma_f64 v[208:209], v[8:9], v[156:157], -v[16:17]
	v_fmac_f64_e32 v[210:211], v[10:11], v[156:157]
	ds_read_b128 v[156:159], v128 offset:12432
	ds_write_b128 v128, v[208:211] offset:3024
	s_waitcnt vmcnt(13) lgkmcnt(5)
	v_mul_f64 v[8:9], v[42:43], v[166:167]
	v_mul_f64 v[10:11], v[40:41], v[166:167]
	v_fma_f64 v[8:9], v[40:41], v[164:165], -v[8:9]
	v_fmac_f64_e32 v[10:11], v[42:43], v[164:165]
	ds_read_b128 v[40:43], v128 offset:4032
	ds_write_b128 v128, v[8:11] offset:11424
	ds_read_b128 v[164:167], v128 offset:20832
	s_waitcnt vmcnt(12) lgkmcnt(6)
	v_mul_f64 v[8:9], v[46:47], v[178:179]
	v_mul_f64 v[10:11], v[44:45], v[178:179]
	v_fma_f64 v[8:9], v[44:45], v[176:177], -v[8:9]
	v_fmac_f64_e32 v[10:11], v[46:47], v[176:177]
	ds_write_b128 v128, v[8:11] offset:19824
	ds_read_b128 v[8:11], v128 offset:5040
	s_waitcnt vmcnt(11) lgkmcnt(4)
	v_mul_f64 v[16:17], v[42:43], v[190:191]
	v_mul_f64 v[46:47], v[40:41], v[190:191]
	v_fma_f64 v[44:45], v[40:41], v[188:189], -v[16:17]
	v_fmac_f64_e32 v[46:47], v[42:43], v[188:189]
	ds_write_b128 v128, v[44:47] offset:4032
	ds_read_b128 v[40:43], v128 offset:13440
	s_waitcnt vmcnt(10)
	v_mul_f64 v[16:17], v[158:159], v[198:199]
	v_mul_f64 v[46:47], v[156:157], v[198:199]
	v_fma_f64 v[44:45], v[156:157], v[196:197], -v[16:17]
	v_fmac_f64_e32 v[46:47], v[158:159], v[196:197]
	ds_write_b128 v128, v[44:47] offset:12432
	ds_read_b128 v[44:47], v128 offset:21840
	s_waitcnt vmcnt(9) lgkmcnt(6)
	v_mul_f64 v[16:17], v[166:167], v[202:203]
	v_mul_f64 v[158:159], v[164:165], v[202:203]
	v_fma_f64 v[156:157], v[164:165], v[200:201], -v[16:17]
	v_fmac_f64_e32 v[158:159], v[166:167], v[200:201]
	ds_write_b128 v128, v[156:159] offset:20832
	s_waitcnt vmcnt(8) lgkmcnt(5)
	v_mul_f64 v[16:17], v[10:11], v[206:207]
	v_mul_f64 v[158:159], v[8:9], v[206:207]
	v_fma_f64 v[156:157], v[8:9], v[204:205], -v[16:17]
	v_fmac_f64_e32 v[158:159], v[10:11], v[204:205]
	s_waitcnt vmcnt(7) lgkmcnt(3)
	v_mul_f64 v[8:9], v[42:43], v[194:195]
	v_mul_f64 v[10:11], v[40:41], v[194:195]
	v_fma_f64 v[8:9], v[40:41], v[192:193], -v[8:9]
	v_fmac_f64_e32 v[10:11], v[42:43], v[192:193]
	ds_read_b128 v[40:43], v128 offset:6048
	ds_write_b128 v128, v[8:11] offset:13440
	s_waitcnt vmcnt(6) lgkmcnt(3)
	v_mul_f64 v[8:9], v[46:47], v[186:187]
	v_mul_f64 v[10:11], v[44:45], v[186:187]
	ds_write_b128 v128, v[156:159] offset:5040
	v_fma_f64 v[8:9], v[44:45], v[184:185], -v[8:9]
	v_fmac_f64_e32 v[10:11], v[46:47], v[184:185]
	ds_read_b128 v[156:159], v128 offset:14448
	ds_write_b128 v128, v[8:11] offset:21840
	ds_read_b128 v[8:11], v128 offset:7056
	s_waitcnt vmcnt(5) lgkmcnt(5)
	v_mul_f64 v[16:17], v[42:43], v[30:31]
	v_mul_f64 v[46:47], v[40:41], v[30:31]
	v_fma_f64 v[44:45], v[40:41], v[28:29], -v[16:17]
	v_fmac_f64_e32 v[46:47], v[42:43], v[28:29]
	ds_read_b128 v[28:31], v128 offset:15456
	ds_write_b128 v128, v[44:47] offset:6048
	ds_read_b128 v[44:47], v128 offset:22848
	s_waitcnt vmcnt(4) lgkmcnt(5)
	v_mul_f64 v[16:17], v[158:159], v[182:183]
	v_mul_f64 v[42:43], v[156:157], v[182:183]
	v_fma_f64 v[40:41], v[156:157], v[180:181], -v[16:17]
	v_fmac_f64_e32 v[42:43], v[158:159], v[180:181]
	ds_write_b128 v128, v[40:43] offset:14448
	ds_read_b128 v[40:43], v128 offset:23856
	s_waitcnt vmcnt(3) lgkmcnt(2)
	v_mul_f64 v[16:17], v[46:47], v[172:173]
	v_mul_f64 v[158:159], v[44:45], v[172:173]
	v_fma_f64 v[156:157], v[44:45], v[170:171], -v[16:17]
	v_fmac_f64_e32 v[158:159], v[46:47], v[170:171]
	s_waitcnt vmcnt(2)
	v_mul_f64 v[16:17], v[10:11], v[50:51]
	v_mul_f64 v[46:47], v[8:9], v[50:51]
	v_fma_f64 v[44:45], v[8:9], v[48:49], -v[16:17]
	v_fmac_f64_e32 v[46:47], v[10:11], v[48:49]
	ds_write_b128 v128, v[156:159] offset:22848
	s_waitcnt vmcnt(1)
	v_mul_f64 v[8:9], v[30:31], v[162:163]
	v_mul_f64 v[10:11], v[28:29], v[162:163]
	v_fma_f64 v[8:9], v[28:29], v[160:161], -v[8:9]
	v_fmac_f64_e32 v[10:11], v[30:31], v[160:161]
	ds_write_b128 v128, v[8:11] offset:15456
	s_waitcnt vmcnt(0) lgkmcnt(2)
	v_mul_f64 v[8:9], v[42:43], v[22:23]
	v_mul_f64 v[10:11], v[40:41], v[22:23]
	v_fma_f64 v[8:9], v[40:41], v[20:21], -v[8:9]
	v_fmac_f64_e32 v[10:11], v[42:43], v[20:21]
	ds_write_b128 v128, v[44:47] offset:7056
	ds_write_b128 v128, v[8:11] offset:23856
	s_and_saveexec_b64 s[0:1], s[4:5]
	s_cbranch_execz .LBB0_17
; %bb.16:
	v_add_co_u32_e32 v16, vcc, 0x1000, v212
	ds_read_b128 v[8:11], v128 offset:8064
	s_nop 0
	v_addc_co_u32_e32 v17, vcc, 0, v213, vcc
	global_load_dwordx4 v[20:23], v[16:17], off offset:3968
	s_movk_i32 s7, 0x4000
	s_waitcnt vmcnt(0) lgkmcnt(0)
	v_mul_f64 v[16:17], v[10:11], v[22:23]
	v_fma_f64 v[28:29], v[8:9], v[20:21], -v[16:17]
	v_add_co_u32_e32 v16, vcc, s7, v212
	v_mul_f64 v[30:31], v[8:9], v[22:23]
	s_nop 0
	v_addc_co_u32_e32 v17, vcc, 0, v213, vcc
	v_fmac_f64_e32 v[30:31], v[10:11], v[20:21]
	global_load_dwordx4 v[20:23], v[16:17], off offset:80
	ds_read_b128 v[8:11], v128 offset:16464
	ds_write_b128 v128, v[28:31] offset:8064
	s_waitcnt vmcnt(0) lgkmcnt(1)
	v_mul_f64 v[16:17], v[10:11], v[22:23]
	v_fma_f64 v[28:29], v[8:9], v[20:21], -v[16:17]
	v_add_co_u32_e32 v16, vcc, s6, v212
	v_mul_f64 v[30:31], v[8:9], v[22:23]
	s_nop 0
	v_addc_co_u32_e32 v17, vcc, 0, v213, vcc
	v_fmac_f64_e32 v[30:31], v[10:11], v[20:21]
	global_load_dwordx4 v[20:23], v[16:17], off offset:288
	ds_read_b128 v[8:11], v128 offset:24864
	ds_write_b128 v128, v[28:31] offset:16464
	s_waitcnt vmcnt(0) lgkmcnt(1)
	v_mul_f64 v[16:17], v[10:11], v[22:23]
	v_mul_f64 v[30:31], v[8:9], v[22:23]
	v_fma_f64 v[28:29], v[8:9], v[20:21], -v[16:17]
	v_fmac_f64_e32 v[30:31], v[10:11], v[20:21]
	ds_write_b128 v128, v[28:31] offset:24864
.LBB0_17:
	s_or_b64 exec, exec, s[0:1]
	s_waitcnt lgkmcnt(0)
	; wave barrier
	s_waitcnt lgkmcnt(0)
	ds_read_b128 v[188:191], v128
	ds_read_b128 v[184:187], v128 offset:1008
	ds_read_b128 v[248:251], v128 offset:8400
	;; [unrolled: 1-line block ×23, first 2 shown]
	s_and_saveexec_b64 s[0:1], s[4:5]
	s_cbranch_execz .LBB0_19
; %bb.18:
	ds_read_b128 v[152:155], v128 offset:8064
	ds_read_b128 v[144:147], v128 offset:16464
	ds_read_b128 v[148:151], v128 offset:24864
.LBB0_19:
	s_or_b64 exec, exec, s[0:1]
	s_waitcnt lgkmcnt(14)
	v_add_f64 v[8:9], v[188:189], v[248:249]
	v_add_f64 v[252:253], v[8:9], v[244:245]
	;; [unrolled: 1-line block ×3, first 2 shown]
	s_mov_b32 s0, 0xe8584caa
	v_fmac_f64_e32 v[188:189], -0.5, v[8:9]
	v_add_f64 v[10:11], v[250:251], -v[246:247]
	s_mov_b32 s1, 0xbfebb67a
	s_mov_b32 s7, 0x3febb67a
	;; [unrolled: 1-line block ×3, first 2 shown]
	v_fma_f64 v[8:9], s[0:1], v[10:11], v[188:189]
	v_fmac_f64_e32 v[188:189], s[6:7], v[10:11]
	v_add_f64 v[10:11], v[190:191], v[250:251]
	v_add_f64 v[254:255], v[10:11], v[246:247]
	v_add_f64 v[10:11], v[250:251], v[246:247]
	v_fmac_f64_e32 v[190:191], -0.5, v[10:11]
	v_add_f64 v[16:17], v[248:249], -v[244:245]
	v_fma_f64 v[10:11], s[6:7], v[16:17], v[190:191]
	v_fmac_f64_e32 v[190:191], s[0:1], v[16:17]
	v_add_f64 v[16:17], v[184:185], v[236:237]
	v_add_f64 v[20:21], v[16:17], v[240:241]
	v_add_f64 v[16:17], v[236:237], v[240:241]
	v_fmac_f64_e32 v[184:185], -0.5, v[16:17]
	v_add_f64 v[16:17], v[238:239], -v[242:243]
	;; [unrolled: 7-line block ×3, first 2 shown]
	v_fma_f64 v[30:31], s[6:7], v[16:17], v[186:187]
	v_fmac_f64_e32 v[186:187], s[0:1], v[16:17]
	v_add_f64 v[16:17], v[180:181], v[228:229]
	s_waitcnt lgkmcnt(13)
	v_add_f64 v[40:41], v[16:17], v[232:233]
	v_add_f64 v[16:17], v[228:229], v[232:233]
	v_fmac_f64_e32 v[180:181], -0.5, v[16:17]
	v_add_f64 v[16:17], v[230:231], -v[234:235]
	v_fma_f64 v[44:45], s[0:1], v[16:17], v[180:181]
	v_fmac_f64_e32 v[180:181], s[6:7], v[16:17]
	v_add_f64 v[16:17], v[182:183], v[230:231]
	v_add_f64 v[42:43], v[16:17], v[234:235]
	v_add_f64 v[16:17], v[230:231], v[234:235]
	v_fmac_f64_e32 v[182:183], -0.5, v[16:17]
	v_add_f64 v[16:17], v[228:229], -v[232:233]
	v_fma_f64 v[46:47], s[6:7], v[16:17], v[182:183]
	v_fmac_f64_e32 v[182:183], s[0:1], v[16:17]
	v_add_f64 v[16:17], v[176:177], v[220:221]
	s_waitcnt lgkmcnt(12)
	v_add_f64 v[48:49], v[16:17], v[224:225]
	v_add_f64 v[16:17], v[220:221], v[224:225]
	v_fmac_f64_e32 v[176:177], -0.5, v[16:17]
	v_add_f64 v[16:17], v[222:223], -v[226:227]
	v_fma_f64 v[228:229], s[0:1], v[16:17], v[176:177]
	v_fmac_f64_e32 v[176:177], s[6:7], v[16:17]
	v_add_f64 v[16:17], v[178:179], v[222:223]
	v_add_f64 v[50:51], v[16:17], v[226:227]
	;; [unrolled: 1-line block ×3, first 2 shown]
	v_fmac_f64_e32 v[178:179], -0.5, v[16:17]
	v_add_f64 v[16:17], v[220:221], -v[224:225]
	v_fma_f64 v[230:231], s[6:7], v[16:17], v[178:179]
	v_fmac_f64_e32 v[178:179], s[0:1], v[16:17]
	s_waitcnt lgkmcnt(9)
	v_add_f64 v[16:17], v[172:173], v[212:213]
	s_waitcnt lgkmcnt(7)
	v_add_f64 v[220:221], v[16:17], v[216:217]
	v_add_f64 v[16:17], v[212:213], v[216:217]
	v_fmac_f64_e32 v[172:173], -0.5, v[16:17]
	v_add_f64 v[16:17], v[214:215], -v[218:219]
	v_fma_f64 v[224:225], s[0:1], v[16:17], v[172:173]
	v_fmac_f64_e32 v[172:173], s[6:7], v[16:17]
	v_add_f64 v[16:17], v[174:175], v[214:215]
	v_add_f64 v[222:223], v[16:17], v[218:219]
	v_add_f64 v[16:17], v[214:215], v[218:219]
	v_fmac_f64_e32 v[174:175], -0.5, v[16:17]
	v_add_f64 v[16:17], v[212:213], -v[216:217]
	v_fma_f64 v[226:227], s[6:7], v[16:17], v[174:175]
	v_fmac_f64_e32 v[174:175], s[0:1], v[16:17]
	v_add_f64 v[16:17], v[168:169], v[204:205]
	s_waitcnt lgkmcnt(6)
	v_add_f64 v[212:213], v[16:17], v[208:209]
	v_add_f64 v[16:17], v[204:205], v[208:209]
	v_fmac_f64_e32 v[168:169], -0.5, v[16:17]
	v_add_f64 v[16:17], v[206:207], -v[210:211]
	v_fma_f64 v[216:217], s[0:1], v[16:17], v[168:169]
	v_fmac_f64_e32 v[168:169], s[6:7], v[16:17]
	v_add_f64 v[16:17], v[170:171], v[206:207]
	v_add_f64 v[214:215], v[16:17], v[210:211]
	;; [unrolled: 1-line block ×3, first 2 shown]
	v_fmac_f64_e32 v[170:171], -0.5, v[16:17]
	v_add_f64 v[16:17], v[204:205], -v[208:209]
	v_fma_f64 v[218:219], s[6:7], v[16:17], v[170:171]
	v_fmac_f64_e32 v[170:171], s[0:1], v[16:17]
	s_waitcnt lgkmcnt(3)
	v_add_f64 v[16:17], v[164:165], v[196:197]
	s_waitcnt lgkmcnt(1)
	v_add_f64 v[204:205], v[16:17], v[200:201]
	v_add_f64 v[16:17], v[196:197], v[200:201]
	v_fmac_f64_e32 v[164:165], -0.5, v[16:17]
	v_add_f64 v[16:17], v[198:199], -v[202:203]
	v_fma_f64 v[208:209], s[0:1], v[16:17], v[164:165]
	v_fmac_f64_e32 v[164:165], s[6:7], v[16:17]
	v_add_f64 v[16:17], v[166:167], v[198:199]
	v_add_f64 v[206:207], v[16:17], v[202:203]
	;; [unrolled: 1-line block ×3, first 2 shown]
	v_fmac_f64_e32 v[166:167], -0.5, v[16:17]
	v_add_f64 v[16:17], v[196:197], -v[200:201]
	v_fma_f64 v[210:211], s[6:7], v[16:17], v[166:167]
	v_fmac_f64_e32 v[166:167], s[0:1], v[16:17]
	v_add_f64 v[16:17], v[160:161], v[156:157]
	s_waitcnt lgkmcnt(0)
	v_add_f64 v[196:197], v[16:17], v[192:193]
	v_add_f64 v[16:17], v[156:157], v[192:193]
	v_fmac_f64_e32 v[160:161], -0.5, v[16:17]
	v_add_f64 v[16:17], v[158:159], -v[194:195]
	v_fma_f64 v[200:201], s[0:1], v[16:17], v[160:161]
	v_fmac_f64_e32 v[160:161], s[6:7], v[16:17]
	v_add_f64 v[16:17], v[162:163], v[158:159]
	v_add_f64 v[198:199], v[16:17], v[194:195]
	v_add_f64 v[16:17], v[158:159], v[194:195]
	v_fmac_f64_e32 v[162:163], -0.5, v[16:17]
	v_add_f64 v[16:17], v[156:157], -v[192:193]
	v_fma_f64 v[202:203], s[6:7], v[16:17], v[162:163]
	v_fmac_f64_e32 v[162:163], s[0:1], v[16:17]
	v_add_f64 v[16:17], v[152:153], v[144:145]
	;; [unrolled: 7-line block ×3, first 2 shown]
	v_add_f64 v[158:159], v[16:17], v[150:151]
	v_add_f64 v[16:17], v[146:147], v[150:151]
	v_fmac_f64_e32 v[154:155], -0.5, v[16:17]
	v_add_f64 v[16:17], v[144:145], -v[148:149]
	v_fma_f64 v[194:195], s[6:7], v[16:17], v[154:155]
	v_fmac_f64_e32 v[154:155], s[0:1], v[16:17]
	s_waitcnt lgkmcnt(0)
	; wave barrier
	scratch_load_dword v16, off, off        ; 4-byte Folded Reload
	s_waitcnt vmcnt(0)
	ds_write_b128 v16, v[252:255]
	ds_write_b128 v16, v[8:11] offset:16
	ds_write_b128 v16, v[188:191] offset:32
	scratch_load_dword v8, off, off offset:4 ; 4-byte Folded Reload
	s_waitcnt vmcnt(0)
	ds_write_b128 v8, v[20:23]
	ds_write_b128 v8, v[28:31] offset:16
	ds_write_b128 v8, v[184:187] offset:32
	scratch_load_dword v8, off, off offset:8 ; 4-byte Folded Reload
	s_waitcnt vmcnt(0)
	ds_write_b128 v8, v[40:43]
	ds_write_b128 v8, v[44:47] offset:16
	ds_write_b128 v8, v[180:183] offset:32
	scratch_load_dword v8, off, off offset:12 ; 4-byte Folded Reload
	s_waitcnt vmcnt(0)
	ds_write_b128 v8, v[48:51]
	ds_write_b128 v8, v[228:231] offset:16
	ds_write_b128 v8, v[176:179] offset:32
	scratch_load_dword v8, off, off offset:16 ; 4-byte Folded Reload
	s_waitcnt vmcnt(0)
	ds_write_b128 v8, v[220:223]
	ds_write_b128 v8, v[224:227] offset:16
	ds_write_b128 v8, v[172:175] offset:32
	scratch_load_dword v8, off, off offset:20 ; 4-byte Folded Reload
	s_waitcnt vmcnt(0)
	ds_write_b128 v8, v[212:215]
	ds_write_b128 v8, v[216:219] offset:16
	ds_write_b128 v8, v[168:171] offset:32
	scratch_load_dword v8, off, off offset:24 ; 4-byte Folded Reload
	s_waitcnt vmcnt(0)
	ds_write_b128 v8, v[204:207]
	ds_write_b128 v8, v[208:211] offset:16
	ds_write_b128 v8, v[164:167] offset:32
	scratch_load_dword v8, off, off offset:28 ; 4-byte Folded Reload
	s_waitcnt vmcnt(0)
	ds_write_b128 v8, v[196:199]
	ds_write_b128 v8, v[200:203] offset:16
	ds_write_b128 v8, v[160:163] offset:32
	s_and_saveexec_b64 s[0:1], s[4:5]
	s_cbranch_execz .LBB0_21
; %bb.20:
	scratch_load_dword v8, off, off offset:384 ; 4-byte Folded Reload
	s_waitcnt vmcnt(0)
	v_lshlrev_b32_e32 v8, 4, v8
	ds_write_b128 v8, v[156:159]
	ds_write_b128 v8, v[192:195] offset:16
	ds_write_b128 v8, v[152:155] offset:32
.LBB0_21:
	s_or_b64 exec, exec, s[0:1]
	s_waitcnt lgkmcnt(0)
	; wave barrier
	s_waitcnt lgkmcnt(0)
	ds_read_b128 v[188:191], v128
	ds_read_b128 v[184:187], v128 offset:1008
	ds_read_b128 v[248:251], v128 offset:8400
	;; [unrolled: 1-line block ×23, first 2 shown]
	s_and_saveexec_b64 s[0:1], s[4:5]
	s_cbranch_execz .LBB0_23
; %bb.22:
	ds_read_b128 v[156:159], v128 offset:8064
	ds_read_b128 v[192:195], v128 offset:16464
	;; [unrolled: 1-line block ×3, first 2 shown]
.LBB0_23:
	s_or_b64 exec, exec, s[0:1]
	v_accvgpr_read_b32 v16, a114
	v_accvgpr_read_b32 v18, a116
	;; [unrolled: 1-line block ×5, first 2 shown]
	s_waitcnt lgkmcnt(14)
	v_mul_f64 v[10:11], v[18:19], v[250:251]
	v_mul_f64 v[8:9], v[18:19], v[248:249]
	v_accvgpr_read_b32 v22, a112
	v_accvgpr_read_b32 v23, a113
	v_fmac_f64_e32 v[10:11], v[16:17], v[248:249]
	v_fma_f64 v[16:17], v[16:17], v[250:251], -v[8:9]
	v_accvgpr_read_b32 v21, a111
	v_mul_f64 v[18:19], v[22:23], v[246:247]
	v_mul_f64 v[8:9], v[22:23], v[244:245]
	v_fmac_f64_e32 v[18:19], v[20:21], v[244:245]
	v_fma_f64 v[28:29], v[20:21], v[246:247], -v[8:9]
	v_accvgpr_read_b32 v20, a122
	v_accvgpr_read_b32 v22, a124
	v_accvgpr_read_b32 v23, a125
	v_accvgpr_read_b32 v21, a123
	v_mul_f64 v[42:43], v[22:23], v[242:243]
	v_mul_f64 v[8:9], v[22:23], v[240:241]
	v_fmac_f64_e32 v[42:43], v[20:21], v[240:241]
	v_fma_f64 v[44:45], v[20:21], v[242:243], -v[8:9]
	v_accvgpr_read_b32 v20, a118
	v_accvgpr_read_b32 v22, a120
	v_accvgpr_read_b32 v23, a121
	;; [unrolled: 8-line block ×4, first 2 shown]
	v_accvgpr_read_b32 v21, a127
	s_waitcnt lgkmcnt(13)
	v_mul_f64 v[58:59], v[22:23], v[230:231]
	v_mul_f64 v[8:9], v[22:23], v[228:229]
	v_fmac_f64_e32 v[58:59], v[20:21], v[228:229]
	v_fma_f64 v[60:61], v[20:21], v[230:231], -v[8:9]
	v_accvgpr_read_b32 v20, a138
	v_accvgpr_read_b32 v22, a140
	;; [unrolled: 1-line block ×4, first 2 shown]
	v_mul_f64 v[62:63], v[22:23], v[226:227]
	v_mul_f64 v[8:9], v[22:23], v[224:225]
	v_fmac_f64_e32 v[62:63], v[20:21], v[224:225]
	v_fma_f64 v[224:225], v[20:21], v[226:227], -v[8:9]
	v_accvgpr_read_b32 v20, a134
	v_accvgpr_read_b32 v22, a136
	v_accvgpr_read_b32 v23, a137
	v_accvgpr_read_b32 v21, a135
	s_waitcnt lgkmcnt(12)
	v_mul_f64 v[226:227], v[22:23], v[218:219]
	v_mul_f64 v[8:9], v[22:23], v[216:217]
	v_fmac_f64_e32 v[226:227], v[20:21], v[216:217]
	v_fma_f64 v[216:217], v[20:21], v[218:219], -v[8:9]
	v_accvgpr_read_b32 v20, a146
	v_accvgpr_read_b32 v22, a148
	v_accvgpr_read_b32 v23, a149
	v_accvgpr_read_b32 v21, a147
	s_waitcnt lgkmcnt(9)
	;; [unrolled: 9-line block ×3, first 2 shown]
	v_mul_f64 v[222:223], v[22:23], v[214:215]
	v_mul_f64 v[8:9], v[22:23], v[212:213]
	v_fmac_f64_e32 v[222:223], v[20:21], v[212:213]
	v_fma_f64 v[212:213], v[20:21], v[214:215], -v[8:9]
	v_accvgpr_read_b32 v20, a154
	v_accvgpr_read_b32 v22, a156
	;; [unrolled: 1-line block ×4, first 2 shown]
	v_mul_f64 v[228:229], v[22:23], v[210:211]
	v_mul_f64 v[8:9], v[22:23], v[208:209]
	v_fmac_f64_e32 v[228:229], v[20:21], v[208:209]
	v_fma_f64 v[230:231], v[20:21], v[210:211], -v[8:9]
	v_accvgpr_read_b32 v20, a150
	v_accvgpr_read_b32 v22, a152
	v_accvgpr_read_b32 v23, a153
	v_accvgpr_read_b32 v21, a151
	s_waitcnt lgkmcnt(6)
	v_mul_f64 v[232:233], v[22:23], v[202:203]
	v_mul_f64 v[8:9], v[22:23], v[200:201]
	v_fmac_f64_e32 v[232:233], v[20:21], v[200:201]
	v_fma_f64 v[234:235], v[20:21], v[202:203], -v[8:9]
	v_accvgpr_read_b32 v20, a162
	v_accvgpr_read_b32 v22, a164
	v_accvgpr_read_b32 v23, a165
	v_accvgpr_read_b32 v21, a163
	s_waitcnt lgkmcnt(3)
	;; [unrolled: 9-line block ×3, first 2 shown]
	v_mul_f64 v[240:241], v[22:23], v[198:199]
	v_mul_f64 v[8:9], v[22:23], v[196:197]
	v_fmac_f64_e32 v[240:241], v[20:21], v[196:197]
	v_fma_f64 v[242:243], v[20:21], v[198:199], -v[8:9]
	v_accvgpr_read_b32 v20, a170
	v_accvgpr_read_b32 v22, a172
	;; [unrolled: 1-line block ×4, first 2 shown]
	v_mul_f64 v[196:197], v[22:23], v[150:151]
	v_mul_f64 v[8:9], v[22:23], v[148:149]
	v_fmac_f64_e32 v[196:197], v[20:21], v[148:149]
	v_fma_f64 v[148:149], v[20:21], v[150:151], -v[8:9]
	v_accvgpr_read_b32 v20, a166
	v_accvgpr_read_b32 v22, a168
	;; [unrolled: 1-line block ×5, first 2 shown]
	s_waitcnt lgkmcnt(0)
	v_mul_f64 v[150:151], v[22:23], v[146:147]
	v_mul_f64 v[8:9], v[22:23], v[144:145]
	v_accvgpr_read_b32 v200, a180
	v_fmac_f64_e32 v[150:151], v[20:21], v[144:145]
	v_fma_f64 v[144:145], v[20:21], v[146:147], -v[8:9]
	v_accvgpr_read_b32 v199, a179
	v_accvgpr_read_b32 v198, a178
	v_mul_f64 v[20:21], v[200:201], v[194:195]
	v_mul_f64 v[8:9], v[200:201], v[192:193]
	v_fmac_f64_e32 v[20:21], v[198:199], v[192:193]
	v_fma_f64 v[130:131], v[198:199], v[194:195], -v[8:9]
	v_accvgpr_read_b32 v195, a177
	v_accvgpr_read_b32 v194, a176
	v_accvgpr_read_b32 v193, a175
	v_accvgpr_read_b32 v192, a174
	v_mul_f64 v[22:23], v[194:195], v[154:155]
	v_mul_f64 v[8:9], v[194:195], v[152:153]
	v_fmac_f64_e32 v[22:23], v[192:193], v[152:153]
	v_fma_f64 v[192:193], v[192:193], v[154:155], -v[8:9]
	v_add_f64 v[8:9], v[188:189], v[10:11]
	v_add_f64 v[152:153], v[8:9], v[18:19]
	;; [unrolled: 1-line block ×3, first 2 shown]
	s_mov_b32 s0, 0xe8584caa
	v_fmac_f64_e32 v[188:189], -0.5, v[8:9]
	v_add_f64 v[30:31], v[16:17], -v[28:29]
	s_mov_b32 s1, 0xbfebb67a
	s_mov_b32 s6, s0
	v_fma_f64 v[8:9], s[0:1], v[30:31], v[188:189]
	v_fmac_f64_e32 v[188:189], s[6:7], v[30:31]
	v_add_f64 v[30:31], v[190:191], v[16:17]
	v_add_f64 v[16:17], v[16:17], v[28:29]
	v_fmac_f64_e32 v[190:191], -0.5, v[16:17]
	v_add_f64 v[16:17], v[10:11], -v[18:19]
	v_fma_f64 v[10:11], s[6:7], v[16:17], v[190:191]
	v_fmac_f64_e32 v[190:191], s[0:1], v[16:17]
	v_add_f64 v[16:17], v[184:185], v[42:43]
	v_add_f64 v[154:155], v[30:31], v[28:29]
	;; [unrolled: 1-line block ×4, first 2 shown]
	v_fmac_f64_e32 v[184:185], -0.5, v[16:17]
	v_add_f64 v[16:17], v[44:45], -v[48:49]
	v_fma_f64 v[40:41], s[0:1], v[16:17], v[184:185]
	v_fmac_f64_e32 v[184:185], s[6:7], v[16:17]
	v_add_f64 v[16:17], v[186:187], v[44:45]
	v_add_f64 v[30:31], v[16:17], v[48:49]
	v_add_f64 v[16:17], v[44:45], v[48:49]
	v_fmac_f64_e32 v[186:187], -0.5, v[16:17]
	v_add_f64 v[16:17], v[42:43], -v[46:47]
	v_fma_f64 v[42:43], s[6:7], v[16:17], v[186:187]
	v_fmac_f64_e32 v[186:187], s[0:1], v[16:17]
	v_add_f64 v[16:17], v[164:165], v[50:51]
	v_add_f64 v[44:45], v[16:17], v[58:59]
	v_add_f64 v[16:17], v[50:51], v[58:59]
	;; [unrolled: 7-line block ×13, first 2 shown]
	v_fmac_f64_e32 v[170:171], -0.5, v[16:17]
	v_add_f64 v[16:17], v[196:197], -v[150:151]
	v_fma_f64 v[196:197], s[6:7], v[16:17], v[170:171]
	v_fmac_f64_e32 v[170:171], s[0:1], v[16:17]
	v_add_f64 v[16:17], v[20:21], v[22:23]
	v_fma_f64 v[148:149], -0.5, v[16:17], v[156:157]
	v_add_f64 v[16:17], v[130:131], -v[192:193]
	v_fma_f64 v[144:145], s[0:1], v[16:17], v[148:149]
	v_fmac_f64_e32 v[148:149], s[6:7], v[16:17]
	v_add_f64 v[16:17], v[130:131], v[192:193]
	v_fma_f64 v[150:151], -0.5, v[16:17], v[158:159]
	v_add_f64 v[16:17], v[20:21], -v[22:23]
	v_fma_f64 v[146:147], s[6:7], v[16:17], v[150:151]
	v_fmac_f64_e32 v[150:151], s[0:1], v[16:17]
	s_waitcnt lgkmcnt(0)
	; wave barrier
	scratch_load_dword v16, off, off offset:32 ; 4-byte Folded Reload
	s_waitcnt vmcnt(0)
	ds_write_b128 v16, v[152:155]
	ds_write_b128 v16, v[8:11] offset:48
	ds_write_b128 v16, v[188:191] offset:96
	scratch_load_dword v8, off, off offset:52 ; 4-byte Folded Reload
	s_waitcnt vmcnt(0)
	ds_write_b128 v8, v[28:31]
	ds_write_b128 v8, v[40:43] offset:48
	ds_write_b128 v8, v[184:187] offset:96
	;; [unrolled: 5-line block ×8, first 2 shown]
	s_and_saveexec_b64 s[0:1], s[4:5]
	s_cbranch_execz .LBB0_25
; %bb.24:
	v_add_f64 v[8:9], v[158:159], v[130:131]
	v_add_f64 v[10:11], v[8:9], v[192:193]
	;; [unrolled: 1-line block ×3, first 2 shown]
	v_accvgpr_read_b32 v16, a189
	v_add_f64 v[8:9], v[8:9], v[22:23]
	v_lshlrev_b32_e32 v16, 4, v16
	ds_write_b128 v16, v[8:11]
	ds_write_b128 v16, v[144:147] offset:48
	ds_write_b128 v16, v[148:151] offset:96
.LBB0_25:
	s_or_b64 exec, exec, s[0:1]
	v_accvgpr_read_b32 v60, a198
	v_accvgpr_read_b32 v62, a200
	;; [unrolled: 1-line block ×3, first 2 shown]
	s_waitcnt lgkmcnt(0)
	; wave barrier
	s_waitcnt lgkmcnt(0)
	ds_read_b128 v[168:171], v128
	ds_read_b128 v[172:175], v128 offset:1008
	ds_read_b128 v[8:11], v128 offset:10080
	;; [unrolled: 1-line block ×24, first 2 shown]
	v_accvgpr_read_b32 v61, a199
	s_waitcnt lgkmcnt(8)
	v_mul_f64 v[56:57], v[62:63], v[198:199]
	v_mul_f64 v[58:59], v[62:63], v[196:197]
	v_fmac_f64_e32 v[56:57], v[60:61], v[196:197]
	v_fma_f64 v[58:59], v[60:61], v[198:199], -v[58:59]
	v_accvgpr_read_b32 v199, a197
	v_accvgpr_read_b32 v198, a196
	;; [unrolled: 1-line block ×4, first 2 shown]
	v_mul_f64 v[60:61], v[198:199], v[10:11]
	v_accvgpr_read_b32 v219, a193
	v_fmac_f64_e32 v[60:61], v[196:197], v[8:9]
	v_mul_f64 v[8:9], v[198:199], v[8:9]
	v_accvgpr_read_b32 v218, a192
	v_fma_f64 v[62:63], v[196:197], v[10:11], -v[8:9]
	v_accvgpr_read_b32 v217, a191
	v_accvgpr_read_b32 v216, a190
	s_waitcnt lgkmcnt(4)
	v_mul_f64 v[198:199], v[218:219], v[210:211]
	v_mul_f64 v[8:9], v[218:219], v[208:209]
	v_fmac_f64_e32 v[198:199], v[216:217], v[208:209]
	v_fma_f64 v[208:209], v[216:217], v[210:211], -v[8:9]
	v_accvgpr_read_b32 v219, a205
	v_accvgpr_read_b32 v218, a204
	;; [unrolled: 1-line block ×4, first 2 shown]
	v_mul_f64 v[210:211], v[218:219], v[30:31]
	v_mul_f64 v[8:9], v[218:219], v[28:29]
	v_fmac_f64_e32 v[210:211], v[216:217], v[28:29]
	v_fma_f64 v[28:29], v[216:217], v[30:31], -v[8:9]
	v_accvgpr_read_b32 v216, a226
	v_accvgpr_read_b32 v218, a228
	;; [unrolled: 1-line block ×3, first 2 shown]
	v_mul_f64 v[30:31], v[218:219], v[46:47]
	v_mul_f64 v[8:9], v[218:219], v[44:45]
	v_accvgpr_read_b32 v218, a222
	v_accvgpr_read_b32 v217, a227
	;; [unrolled: 1-line block ×4, first 2 shown]
	v_fmac_f64_e32 v[30:31], v[216:217], v[44:45]
	v_fma_f64 v[216:217], v[216:217], v[46:47], -v[8:9]
	v_accvgpr_read_b32 v219, a223
	v_mul_f64 v[44:45], v[220:221], v[22:23]
	v_mul_f64 v[8:9], v[220:221], v[20:21]
	v_fmac_f64_e32 v[44:45], v[218:219], v[20:21]
	v_fma_f64 v[218:219], v[218:219], v[22:23], -v[8:9]
	v_accvgpr_read_b32 v20, a218
	v_accvgpr_read_b32 v22, a220
	v_accvgpr_read_b32 v23, a221
	v_accvgpr_read_b32 v21, a219
	v_mul_f64 v[46:47], v[22:23], v[158:159]
	v_mul_f64 v[8:9], v[22:23], v[156:157]
	v_fmac_f64_e32 v[46:47], v[20:21], v[156:157]
	v_fma_f64 v[220:221], v[20:21], v[158:159], -v[8:9]
	v_accvgpr_read_b32 v20, a210
	v_accvgpr_read_b32 v22, a212
	v_accvgpr_read_b32 v23, a213
	;; [unrolled: 8-line block ×6, first 2 shown]
	v_accvgpr_read_b32 v40, a238
	v_accvgpr_read_b32 v21, a235
	v_mul_f64 v[240:241], v[22:23], v[190:191]
	v_mul_f64 v[10:11], v[22:23], v[188:189]
	v_accvgpr_read_b32 v42, a240
	v_accvgpr_read_b32 v43, a241
	v_fmac_f64_e32 v[240:241], v[20:21], v[188:189]
	v_fma_f64 v[236:237], v[20:21], v[190:191], -v[10:11]
	v_accvgpr_read_b32 v41, a239
	v_mul_f64 v[10:11], v[42:43], v[202:203]
	v_mul_f64 v[20:21], v[42:43], v[200:201]
	v_fmac_f64_e32 v[10:11], v[40:41], v[200:201]
	v_fma_f64 v[156:157], v[40:41], v[202:203], -v[20:21]
	v_accvgpr_read_b32 v40, a230
	v_accvgpr_read_b32 v42, a232
	;; [unrolled: 1-line block ×5, first 2 shown]
	v_mul_f64 v[20:21], v[42:43], v[186:187]
	v_mul_f64 v[22:23], v[42:43], v[184:185]
	v_accvgpr_read_b32 v50, a108
	v_accvgpr_read_b32 v51, a109
	v_fmac_f64_e32 v[20:21], v[40:41], v[184:185]
	v_fma_f64 v[160:161], v[40:41], v[186:187], -v[22:23]
	v_accvgpr_read_b32 v49, a107
	s_waitcnt lgkmcnt(2)
	v_mul_f64 v[22:23], v[50:51], v[244:245]
	v_mul_f64 v[40:41], v[50:51], v[242:243]
	v_fmac_f64_e32 v[22:23], v[48:49], v[242:243]
	v_fma_f64 v[162:163], v[48:49], v[244:245], -v[40:41]
	v_accvgpr_read_b32 v48, a250
	v_accvgpr_read_b32 v50, a252
	v_accvgpr_read_b32 v51, a253
	v_accvgpr_read_b32 v49, a251
	v_mul_f64 v[164:165], v[50:51], v[194:195]
	v_mul_f64 v[40:41], v[50:51], v[192:193]
	v_fmac_f64_e32 v[164:165], v[48:49], v[192:193]
	v_fma_f64 v[130:131], v[48:49], v[194:195], -v[40:41]
	v_accvgpr_read_b32 v48, a102
	v_accvgpr_read_b32 v50, a104
	v_accvgpr_read_b32 v51, a105
	v_accvgpr_read_b32 v49, a103
	;; [unrolled: 8-line block ×4, first 2 shown]
	s_waitcnt lgkmcnt(1)
	v_mul_f64 v[252:253], v[50:51], v[250:251]
	v_mul_f64 v[40:41], v[50:51], v[248:249]
	v_fmac_f64_e32 v[252:253], v[48:49], v[248:249]
	v_fma_f64 v[248:249], v[48:49], v[250:251], -v[40:41]
	v_accvgpr_read_b32 v40, a182
	v_accvgpr_read_b32 v42, a184
	;; [unrolled: 1-line block ×4, first 2 shown]
	s_waitcnt lgkmcnt(0)
	v_mul_f64 v[254:255], v[42:43], v[18:19]
	v_fmac_f64_e32 v[254:255], v[40:41], v[16:17]
	v_mul_f64 v[16:17], v[42:43], v[16:17]
	v_fma_f64 v[250:251], v[40:41], v[18:19], -v[16:17]
	v_add_f64 v[16:17], v[168:169], v[56:57]
	v_add_f64 v[16:17], v[16:17], v[60:61]
	;; [unrolled: 1-line block ×5, first 2 shown]
	s_mov_b32 s6, 0x134454ff
	v_fma_f64 v[184:185], -0.5, v[16:17], v[168:169]
	v_add_f64 v[16:17], v[58:59], -v[28:29]
	s_mov_b32 s7, 0xbfee6f0e
	s_mov_b32 s0, 0x4755a5e
	;; [unrolled: 1-line block ×4, first 2 shown]
	v_fma_f64 v[192:193], s[6:7], v[16:17], v[184:185]
	v_add_f64 v[18:19], v[62:63], -v[208:209]
	s_mov_b32 s1, 0xbfe2cf23
	v_add_f64 v[40:41], v[56:57], -v[60:61]
	v_add_f64 v[42:43], v[210:211], -v[198:199]
	v_fmac_f64_e32 v[184:185], s[16:17], v[16:17]
	s_mov_b32 s19, 0x3fe2cf23
	s_mov_b32 s18, s0
	v_fmac_f64_e32 v[192:193], s[0:1], v[18:19]
	v_add_f64 v[40:41], v[40:41], v[42:43]
	v_fmac_f64_e32 v[184:185], s[18:19], v[18:19]
	v_fmac_f64_e32 v[192:193], s[14:15], v[40:41]
	v_fmac_f64_e32 v[184:185], s[14:15], v[40:41]
	v_add_f64 v[40:41], v[56:57], v[210:211]
	v_fmac_f64_e32 v[168:169], -0.5, v[40:41]
	v_fma_f64 v[196:197], s[16:17], v[18:19], v[168:169]
	v_fmac_f64_e32 v[168:169], s[6:7], v[18:19]
	v_fmac_f64_e32 v[196:197], s[0:1], v[16:17]
	v_fmac_f64_e32 v[168:169], s[18:19], v[16:17]
	v_add_f64 v[16:17], v[170:171], v[58:59]
	v_add_f64 v[16:17], v[16:17], v[62:63]
	v_add_f64 v[16:17], v[16:17], v[208:209]
	v_add_f64 v[40:41], v[60:61], -v[56:57]
	v_add_f64 v[42:43], v[198:199], -v[210:211]
	v_add_f64 v[190:191], v[16:17], v[28:29]
	v_add_f64 v[16:17], v[62:63], v[208:209]
	v_add_f64 v[40:41], v[40:41], v[42:43]
	v_fma_f64 v[186:187], -0.5, v[16:17], v[170:171]
	v_add_f64 v[16:17], v[56:57], -v[210:211]
	v_fmac_f64_e32 v[196:197], s[14:15], v[40:41]
	v_fmac_f64_e32 v[168:169], s[14:15], v[40:41]
	v_fma_f64 v[194:195], s[16:17], v[16:17], v[186:187]
	v_add_f64 v[18:19], v[60:61], -v[198:199]
	v_add_f64 v[40:41], v[58:59], -v[62:63]
	v_add_f64 v[42:43], v[28:29], -v[208:209]
	v_fmac_f64_e32 v[186:187], s[6:7], v[16:17]
	v_fmac_f64_e32 v[194:195], s[18:19], v[18:19]
	v_add_f64 v[40:41], v[40:41], v[42:43]
	v_fmac_f64_e32 v[186:187], s[0:1], v[18:19]
	v_fmac_f64_e32 v[194:195], s[14:15], v[40:41]
	v_fmac_f64_e32 v[186:187], s[14:15], v[40:41]
	v_add_f64 v[40:41], v[58:59], v[28:29]
	v_fmac_f64_e32 v[170:171], -0.5, v[40:41]
	v_fma_f64 v[198:199], s[6:7], v[18:19], v[170:171]
	v_fmac_f64_e32 v[170:171], s[16:17], v[18:19]
	v_fmac_f64_e32 v[198:199], s[18:19], v[16:17]
	v_fmac_f64_e32 v[170:171], s[0:1], v[16:17]
	v_add_f64 v[16:17], v[172:173], v[30:31]
	v_add_f64 v[16:17], v[16:17], v[44:45]
	v_add_f64 v[16:17], v[16:17], v[46:47]
	v_add_f64 v[40:41], v[62:63], -v[58:59]
	v_add_f64 v[28:29], v[208:209], -v[28:29]
	v_add_f64 v[204:205], v[16:17], v[224:225]
	v_add_f64 v[16:17], v[44:45], v[46:47]
	v_add_f64 v[28:29], v[40:41], v[28:29]
	v_fma_f64 v[200:201], -0.5, v[16:17], v[172:173]
	v_add_f64 v[16:17], v[216:217], -v[222:223]
	v_fmac_f64_e32 v[198:199], s[14:15], v[28:29]
	v_fmac_f64_e32 v[170:171], s[14:15], v[28:29]
	v_fma_f64 v[208:209], s[6:7], v[16:17], v[200:201]
	v_add_f64 v[18:19], v[218:219], -v[220:221]
	v_add_f64 v[28:29], v[30:31], -v[44:45]
	v_add_f64 v[40:41], v[224:225], -v[46:47]
	v_fmac_f64_e32 v[200:201], s[16:17], v[16:17]
	v_fmac_f64_e32 v[208:209], s[0:1], v[18:19]
	v_add_f64 v[28:29], v[28:29], v[40:41]
	v_fmac_f64_e32 v[200:201], s[18:19], v[18:19]
	v_fmac_f64_e32 v[208:209], s[14:15], v[28:29]
	v_fmac_f64_e32 v[200:201], s[14:15], v[28:29]
	v_add_f64 v[28:29], v[30:31], v[224:225]
	v_fmac_f64_e32 v[172:173], -0.5, v[28:29]
	v_fma_f64 v[212:213], s[16:17], v[18:19], v[172:173]
	v_fmac_f64_e32 v[172:173], s[6:7], v[18:19]
	v_fmac_f64_e32 v[212:213], s[0:1], v[16:17]
	v_fmac_f64_e32 v[172:173], s[18:19], v[16:17]
	v_add_f64 v[16:17], v[174:175], v[216:217]
	v_add_f64 v[16:17], v[16:17], v[218:219]
	v_add_f64 v[16:17], v[16:17], v[220:221]
	v_add_f64 v[28:29], v[44:45], -v[30:31]
	v_add_f64 v[40:41], v[46:47], -v[224:225]
	v_add_f64 v[206:207], v[16:17], v[222:223]
	v_add_f64 v[16:17], v[218:219], v[220:221]
	v_add_f64 v[28:29], v[28:29], v[40:41]
	v_fma_f64 v[202:203], -0.5, v[16:17], v[174:175]
	v_add_f64 v[16:17], v[30:31], -v[224:225]
	v_fmac_f64_e32 v[212:213], s[14:15], v[28:29]
	v_fmac_f64_e32 v[172:173], s[14:15], v[28:29]
	v_fma_f64 v[210:211], s[16:17], v[16:17], v[202:203]
	v_add_f64 v[18:19], v[44:45], -v[46:47]
	v_add_f64 v[28:29], v[216:217], -v[218:219]
	v_add_f64 v[30:31], v[222:223], -v[220:221]
	v_fmac_f64_e32 v[202:203], s[6:7], v[16:17]
	v_fmac_f64_e32 v[210:211], s[18:19], v[18:19]
	v_add_f64 v[28:29], v[28:29], v[30:31]
	v_fmac_f64_e32 v[202:203], s[0:1], v[18:19]
	v_fmac_f64_e32 v[210:211], s[14:15], v[28:29]
	v_fmac_f64_e32 v[202:203], s[14:15], v[28:29]
	v_add_f64 v[28:29], v[216:217], v[222:223]
	v_fmac_f64_e32 v[174:175], -0.5, v[28:29]
	v_fma_f64 v[214:215], s[6:7], v[18:19], v[174:175]
	v_fmac_f64_e32 v[174:175], s[16:17], v[18:19]
	v_fmac_f64_e32 v[214:215], s[18:19], v[16:17]
	v_fmac_f64_e32 v[174:175], s[0:1], v[16:17]
	v_add_f64 v[16:17], v[180:181], v[226:227]
	v_add_f64 v[16:17], v[16:17], v[230:231]
	v_add_f64 v[16:17], v[16:17], v[238:239]
	v_add_f64 v[28:29], v[218:219], -v[216:217]
	v_add_f64 v[30:31], v[220:221], -v[222:223]
	v_add_f64 v[220:221], v[16:17], v[240:241]
	v_add_f64 v[16:17], v[230:231], v[238:239]
	v_add_f64 v[28:29], v[28:29], v[30:31]
	v_fma_f64 v[216:217], -0.5, v[16:17], v[180:181]
	v_add_f64 v[16:17], v[8:9], -v[236:237]
	v_fmac_f64_e32 v[214:215], s[14:15], v[28:29]
	v_fmac_f64_e32 v[174:175], s[14:15], v[28:29]
	v_fma_f64 v[224:225], s[6:7], v[16:17], v[216:217]
	v_add_f64 v[18:19], v[232:233], -v[234:235]
	v_add_f64 v[28:29], v[226:227], -v[230:231]
	v_add_f64 v[30:31], v[240:241], -v[238:239]
	v_fmac_f64_e32 v[216:217], s[16:17], v[16:17]
	v_fmac_f64_e32 v[224:225], s[0:1], v[18:19]
	v_add_f64 v[28:29], v[28:29], v[30:31]
	v_fmac_f64_e32 v[216:217], s[18:19], v[18:19]
	v_fmac_f64_e32 v[224:225], s[14:15], v[28:29]
	v_fmac_f64_e32 v[216:217], s[14:15], v[28:29]
	v_add_f64 v[28:29], v[226:227], v[240:241]
	v_fmac_f64_e32 v[180:181], -0.5, v[28:29]
	v_fma_f64 v[228:229], s[16:17], v[18:19], v[180:181]
	v_fmac_f64_e32 v[180:181], s[6:7], v[18:19]
	v_fmac_f64_e32 v[228:229], s[0:1], v[16:17]
	v_fmac_f64_e32 v[180:181], s[18:19], v[16:17]
	v_add_f64 v[16:17], v[182:183], v[8:9]
	v_add_f64 v[16:17], v[16:17], v[232:233]
	v_add_f64 v[16:17], v[16:17], v[234:235]
	v_add_f64 v[28:29], v[230:231], -v[226:227]
	v_add_f64 v[30:31], v[238:239], -v[240:241]
	v_add_f64 v[222:223], v[16:17], v[236:237]
	v_add_f64 v[16:17], v[232:233], v[234:235]
	v_add_f64 v[28:29], v[28:29], v[30:31]
	v_fma_f64 v[218:219], -0.5, v[16:17], v[182:183]
	v_add_f64 v[16:17], v[226:227], -v[240:241]
	v_fmac_f64_e32 v[228:229], s[14:15], v[28:29]
	v_fmac_f64_e32 v[180:181], s[14:15], v[28:29]
	v_fma_f64 v[226:227], s[16:17], v[16:17], v[218:219]
	v_add_f64 v[18:19], v[230:231], -v[238:239]
	v_add_f64 v[28:29], v[8:9], -v[232:233]
	v_add_f64 v[30:31], v[236:237], -v[234:235]
	v_fmac_f64_e32 v[218:219], s[6:7], v[16:17]
	v_fmac_f64_e32 v[226:227], s[18:19], v[18:19]
	v_add_f64 v[28:29], v[28:29], v[30:31]
	v_fmac_f64_e32 v[218:219], s[0:1], v[18:19]
	v_fmac_f64_e32 v[226:227], s[14:15], v[28:29]
	;; [unrolled: 1-line block ×3, first 2 shown]
	v_add_f64 v[28:29], v[8:9], v[236:237]
	v_fmac_f64_e32 v[182:183], -0.5, v[28:29]
	v_fma_f64 v[230:231], s[6:7], v[18:19], v[182:183]
	v_add_f64 v[8:9], v[232:233], -v[8:9]
	v_add_f64 v[28:29], v[234:235], -v[236:237]
	v_fmac_f64_e32 v[182:183], s[16:17], v[18:19]
	v_fmac_f64_e32 v[230:231], s[18:19], v[16:17]
	v_add_f64 v[8:9], v[8:9], v[28:29]
	v_fmac_f64_e32 v[182:183], s[0:1], v[16:17]
	v_fmac_f64_e32 v[230:231], s[14:15], v[8:9]
	;; [unrolled: 1-line block ×3, first 2 shown]
	v_add_f64 v[8:9], v[176:177], v[10:11]
	v_add_f64 v[8:9], v[8:9], v[20:21]
	;; [unrolled: 1-line block ×5, first 2 shown]
	v_fma_f64 v[232:233], -0.5, v[8:9], v[176:177]
	v_add_f64 v[16:17], v[156:157], -v[130:131]
	v_fma_f64 v[240:241], s[6:7], v[16:17], v[232:233]
	v_add_f64 v[18:19], v[160:161], -v[162:163]
	v_add_f64 v[8:9], v[10:11], -v[20:21]
	;; [unrolled: 1-line block ×3, first 2 shown]
	v_fmac_f64_e32 v[232:233], s[16:17], v[16:17]
	v_fmac_f64_e32 v[240:241], s[0:1], v[18:19]
	v_add_f64 v[8:9], v[8:9], v[28:29]
	v_fmac_f64_e32 v[232:233], s[18:19], v[18:19]
	v_fmac_f64_e32 v[240:241], s[14:15], v[8:9]
	;; [unrolled: 1-line block ×3, first 2 shown]
	v_add_f64 v[8:9], v[10:11], v[164:165]
	v_fmac_f64_e32 v[176:177], -0.5, v[8:9]
	v_fma_f64 v[8:9], s[16:17], v[18:19], v[176:177]
	v_fmac_f64_e32 v[176:177], s[6:7], v[18:19]
	v_fmac_f64_e32 v[8:9], s[0:1], v[16:17]
	;; [unrolled: 1-line block ×3, first 2 shown]
	v_add_f64 v[16:17], v[178:179], v[156:157]
	v_add_f64 v[16:17], v[16:17], v[160:161]
	v_add_f64 v[16:17], v[16:17], v[162:163]
	v_add_f64 v[238:239], v[16:17], v[130:131]
	v_add_f64 v[16:17], v[160:161], v[162:163]
	v_fma_f64 v[234:235], -0.5, v[16:17], v[178:179]
	v_add_f64 v[16:17], v[10:11], -v[164:165]
	v_add_f64 v[28:29], v[20:21], -v[10:11]
	v_fma_f64 v[242:243], s[16:17], v[16:17], v[234:235]
	v_add_f64 v[18:19], v[20:21], -v[22:23]
	v_add_f64 v[10:11], v[156:157], -v[160:161]
	;; [unrolled: 1-line block ×3, first 2 shown]
	v_fmac_f64_e32 v[234:235], s[6:7], v[16:17]
	v_fmac_f64_e32 v[242:243], s[18:19], v[18:19]
	v_add_f64 v[10:11], v[10:11], v[20:21]
	v_fmac_f64_e32 v[234:235], s[0:1], v[18:19]
	v_fmac_f64_e32 v[242:243], s[14:15], v[10:11]
	;; [unrolled: 1-line block ×3, first 2 shown]
	v_add_f64 v[10:11], v[156:157], v[130:131]
	v_fmac_f64_e32 v[178:179], -0.5, v[10:11]
	v_add_f64 v[30:31], v[22:23], -v[164:165]
	v_fma_f64 v[10:11], s[6:7], v[18:19], v[178:179]
	v_add_f64 v[20:21], v[160:161], -v[156:157]
	v_add_f64 v[22:23], v[162:163], -v[130:131]
	v_fmac_f64_e32 v[178:179], s[16:17], v[18:19]
	v_add_f64 v[18:19], v[166:167], v[252:253]
	v_add_f64 v[28:29], v[28:29], v[30:31]
	v_fmac_f64_e32 v[10:11], s[18:19], v[16:17]
	v_add_f64 v[20:21], v[20:21], v[22:23]
	v_fmac_f64_e32 v[178:179], s[0:1], v[16:17]
	v_fma_f64 v[160:161], -0.5, v[18:19], v[152:153]
	v_add_f64 v[18:19], v[244:245], -v[250:251]
	v_fmac_f64_e32 v[8:9], s[14:15], v[28:29]
	v_fmac_f64_e32 v[176:177], s[14:15], v[28:29]
	;; [unrolled: 1-line block ×4, first 2 shown]
	v_fma_f64 v[156:157], s[6:7], v[18:19], v[160:161]
	v_add_f64 v[20:21], v[246:247], -v[248:249]
	v_add_f64 v[22:23], v[158:159], -v[166:167]
	;; [unrolled: 1-line block ×3, first 2 shown]
	v_fmac_f64_e32 v[160:161], s[16:17], v[18:19]
	v_fmac_f64_e32 v[156:157], s[0:1], v[20:21]
	v_add_f64 v[22:23], v[22:23], v[28:29]
	v_fmac_f64_e32 v[160:161], s[18:19], v[20:21]
	v_fmac_f64_e32 v[156:157], s[14:15], v[22:23]
	;; [unrolled: 1-line block ×3, first 2 shown]
	v_add_f64 v[22:23], v[158:159], v[254:255]
	v_add_f64 v[16:17], v[152:153], v[158:159]
	v_fmac_f64_e32 v[152:153], -0.5, v[22:23]
	v_fma_f64 v[164:165], s[16:17], v[20:21], v[152:153]
	v_add_f64 v[22:23], v[166:167], -v[158:159]
	v_add_f64 v[28:29], v[252:253], -v[254:255]
	v_fmac_f64_e32 v[152:153], s[6:7], v[20:21]
	v_add_f64 v[20:21], v[246:247], v[248:249]
	v_fmac_f64_e32 v[164:165], s[0:1], v[18:19]
	v_add_f64 v[22:23], v[22:23], v[28:29]
	v_fmac_f64_e32 v[152:153], s[18:19], v[18:19]
	v_fma_f64 v[162:163], -0.5, v[20:21], v[154:155]
	v_add_f64 v[20:21], v[158:159], -v[254:255]
	v_fmac_f64_e32 v[164:165], s[14:15], v[22:23]
	v_fmac_f64_e32 v[152:153], s[14:15], v[22:23]
	v_fma_f64 v[158:159], s[16:17], v[20:21], v[162:163]
	v_add_f64 v[22:23], v[166:167], -v[252:253]
	v_add_f64 v[28:29], v[244:245], -v[246:247]
	;; [unrolled: 1-line block ×3, first 2 shown]
	v_fmac_f64_e32 v[162:163], s[6:7], v[20:21]
	v_fmac_f64_e32 v[158:159], s[18:19], v[22:23]
	v_add_f64 v[28:29], v[28:29], v[30:31]
	v_fmac_f64_e32 v[162:163], s[0:1], v[22:23]
	v_fmac_f64_e32 v[158:159], s[14:15], v[28:29]
	;; [unrolled: 1-line block ×3, first 2 shown]
	v_add_f64 v[28:29], v[244:245], v[250:251]
	v_add_f64 v[18:19], v[154:155], v[244:245]
	v_fmac_f64_e32 v[154:155], -0.5, v[28:29]
	v_add_f64 v[16:17], v[16:17], v[166:167]
	v_fma_f64 v[166:167], s[6:7], v[22:23], v[154:155]
	v_fmac_f64_e32 v[154:155], s[16:17], v[22:23]
	v_fmac_f64_e32 v[166:167], s[18:19], v[20:21]
	;; [unrolled: 1-line block ×3, first 2 shown]
	v_accvgpr_read_b32 v20, a57
	s_waitcnt lgkmcnt(0)
	; wave barrier
	ds_write_b128 v20, v[188:191]
	ds_write_b128 v20, v[192:195] offset:144
	ds_write_b128 v20, v[196:199] offset:288
	;; [unrolled: 1-line block ×4, first 2 shown]
	v_accvgpr_read_b32 v20, a254
	v_add_f64 v[18:19], v[18:19], v[246:247]
	ds_write_b128 v20, v[204:207]
	ds_write_b128 v20, v[208:211] offset:144
	ds_write_b128 v20, v[212:215] offset:288
	;; [unrolled: 1-line block ×4, first 2 shown]
	v_accvgpr_read_b32 v20, a255
	v_add_f64 v[16:17], v[16:17], v[252:253]
	v_add_f64 v[18:19], v[18:19], v[248:249]
	v_add_f64 v[28:29], v[246:247], -v[244:245]
	v_add_f64 v[30:31], v[248:249], -v[250:251]
	ds_write_b128 v20, v[220:223]
	ds_write_b128 v20, v[224:227] offset:144
	ds_write_b128 v20, v[228:231] offset:288
	;; [unrolled: 1-line block ×4, first 2 shown]
	v_accvgpr_read_b32 v20, a3
	v_add_f64 v[16:17], v[16:17], v[254:255]
	v_add_f64 v[18:19], v[18:19], v[250:251]
	;; [unrolled: 1-line block ×3, first 2 shown]
	ds_write_b128 v20, v[236:239]
	ds_write_b128 v20, v[240:243] offset:144
	ds_write_b128 v20, v[8:11] offset:288
	;; [unrolled: 1-line block ×4, first 2 shown]
	v_accvgpr_read_b32 v8, a186
	v_fmac_f64_e32 v[166:167], s[14:15], v[28:29]
	v_fmac_f64_e32 v[154:155], s[14:15], v[28:29]
	ds_write_b128 v8, v[16:19]
	ds_write_b128 v8, v[156:159] offset:144
	ds_write_b128 v8, v[164:167] offset:288
	;; [unrolled: 1-line block ×4, first 2 shown]
	s_waitcnt lgkmcnt(0)
	; wave barrier
	s_waitcnt lgkmcnt(0)
	ds_read_b128 v[176:179], v128
	ds_read_b128 v[172:175], v128 offset:1008
	ds_read_b128 v[236:239], v128 offset:7200
	;; [unrolled: 1-line block ×20, first 2 shown]
	s_and_saveexec_b64 s[0:1], s[2:3]
	s_cbranch_execz .LBB0_27
; %bb.26:
	ds_read_b128 v[156:159], v128 offset:3024
	ds_read_b128 v[164:167], v128 offset:6624
	;; [unrolled: 1-line block ×7, first 2 shown]
.LBB0_27:
	s_or_b64 exec, exec, s[0:1]
	v_accvgpr_read_b32 v16, a94
	v_accvgpr_read_b32 v18, a96
	;; [unrolled: 1-line block ×5, first 2 shown]
	s_waitcnt lgkmcnt(12)
	v_mul_f64 v[8:9], v[18:19], v[250:251]
	v_mul_f64 v[10:11], v[18:19], v[248:249]
	v_accvgpr_read_b32 v22, a50
	v_accvgpr_read_b32 v23, a51
	;; [unrolled: 1-line block ×3, first 2 shown]
	v_fmac_f64_e32 v[8:9], v[16:17], v[248:249]
	v_fma_f64 v[10:11], v[16:17], v[250:251], -v[10:11]
	v_accvgpr_read_b32 v21, a49
	v_mul_f64 v[16:17], v[22:23], v[238:239]
	v_mul_f64 v[18:19], v[22:23], v[236:237]
	v_accvgpr_read_b32 v30, a64
	v_accvgpr_read_b32 v31, a65
	;; [unrolled: 1-line block ×3, first 2 shown]
	v_fmac_f64_e32 v[16:17], v[20:21], v[236:237]
	v_fma_f64 v[18:19], v[20:21], v[238:239], -v[18:19]
	v_accvgpr_read_b32 v29, a63
	s_waitcnt lgkmcnt(8)
	v_mul_f64 v[20:21], v[30:31], v[246:247]
	v_mul_f64 v[22:23], v[30:31], v[244:245]
	v_accvgpr_read_b32 v42, a92
	v_accvgpr_read_b32 v43, a93
	;; [unrolled: 1-line block ×3, first 2 shown]
	v_fmac_f64_e32 v[20:21], v[28:29], v[244:245]
	v_fma_f64 v[22:23], v[28:29], v[246:247], -v[22:23]
	v_accvgpr_read_b32 v41, a91
	v_mul_f64 v[28:29], v[42:43], v[234:235]
	v_mul_f64 v[30:31], v[42:43], v[232:233]
	v_accvgpr_read_b32 v46, a84
	v_accvgpr_read_b32 v47, a85
	;; [unrolled: 1-line block ×3, first 2 shown]
	v_fmac_f64_e32 v[28:29], v[40:41], v[232:233]
	v_fma_f64 v[30:31], v[40:41], v[234:235], -v[30:31]
	v_accvgpr_read_b32 v45, a83
	s_waitcnt lgkmcnt(4)
	v_mul_f64 v[40:41], v[46:47], v[242:243]
	v_mul_f64 v[42:43], v[46:47], v[240:241]
	v_accvgpr_read_b32 v50, a14
	v_accvgpr_read_b32 v59, a55
	v_fmac_f64_e32 v[40:41], v[44:45], v[240:241]
	v_fma_f64 v[42:43], v[44:45], v[242:243], -v[42:43]
	v_accvgpr_read_b32 v49, a13
	v_accvgpr_read_b32 v48, a12
	v_mul_f64 v[44:45], v[50:51], v[226:227]
	v_mul_f64 v[46:47], v[50:51], v[224:225]
	v_accvgpr_read_b32 v58, a54
	v_fmac_f64_e32 v[44:45], v[48:49], v[224:225]
	v_fma_f64 v[46:47], v[48:49], v[226:227], -v[46:47]
	v_accvgpr_read_b32 v57, a53
	v_accvgpr_read_b32 v56, a52
	v_mul_f64 v[130:131], v[58:59], v[230:231]
	v_mul_f64 v[48:49], v[58:59], v[228:229]
	v_fmac_f64_e32 v[130:131], v[56:57], v[228:229]
	v_fma_f64 v[224:225], v[56:57], v[230:231], -v[48:49]
	v_accvgpr_read_b32 v59, a27
	v_accvgpr_read_b32 v58, a26
	v_accvgpr_read_b32 v57, a25
	v_accvgpr_read_b32 v56, a24
	v_mul_f64 v[226:227], v[58:59], v[214:215]
	v_mul_f64 v[48:49], v[58:59], v[212:213]
	v_fmac_f64_e32 v[226:227], v[56:57], v[212:213]
	v_fma_f64 v[212:213], v[56:57], v[214:215], -v[48:49]
	v_accvgpr_read_b32 v59, a11
	v_accvgpr_read_b32 v58, a10
	;; [unrolled: 8-line block ×4, first 2 shown]
	v_accvgpr_read_b32 v59, a89
	v_accvgpr_read_b32 v57, a87
	s_waitcnt lgkmcnt(2)
	v_mul_f64 v[210:211], v[58:59], v[218:219]
	v_mul_f64 v[48:49], v[58:59], v[216:217]
	v_fmac_f64_e32 v[210:211], v[56:57], v[216:217]
	v_fma_f64 v[216:217], v[56:57], v[218:219], -v[48:49]
	v_accvgpr_read_b32 v56, a58
	v_accvgpr_read_b32 v58, a60
	v_accvgpr_read_b32 v59, a61
	v_accvgpr_read_b32 v57, a59
	v_mul_f64 v[218:219], v[58:59], v[206:207]
	v_mul_f64 v[48:49], v[58:59], v[204:205]
	v_fmac_f64_e32 v[218:219], v[56:57], v[204:205]
	v_fma_f64 v[204:205], v[56:57], v[206:207], -v[48:49]
	v_mul_f64 v[48:49], v[86:87], v[200:201]
	v_fma_f64 v[62:63], v[84:85], v[202:203], -v[48:49]
	v_mul_f64 v[58:59], v[74:75], v[198:199]
	v_mul_f64 v[48:49], v[74:75], v[196:197]
	v_fmac_f64_e32 v[58:59], v[72:73], v[196:197]
	v_fma_f64 v[72:73], v[72:73], v[198:199], -v[48:49]
	v_mul_f64 v[60:61], v[70:71], v[194:195]
	v_mul_f64 v[48:49], v[70:71], v[192:193]
	v_fmac_f64_e32 v[60:61], v[68:69], v[192:193]
	;; [unrolled: 4-line block ×3, first 2 shown]
	v_fma_f64 v[64:65], v[64:65], v[190:191], -v[48:49]
	s_waitcnt lgkmcnt(1)
	v_mul_f64 v[66:67], v[82:83], v[186:187]
	v_mul_f64 v[48:49], v[82:83], v[184:185]
	v_fmac_f64_e32 v[66:67], v[80:81], v[184:185]
	v_fma_f64 v[74:75], v[80:81], v[186:187], -v[48:49]
	s_waitcnt lgkmcnt(0)
	v_mul_f64 v[80:81], v[78:79], v[182:183]
	v_mul_f64 v[48:49], v[78:79], v[180:181]
	v_fmac_f64_e32 v[80:81], v[76:77], v[180:181]
	v_fma_f64 v[76:77], v[76:77], v[182:183], -v[48:49]
	v_add_f64 v[48:49], v[8:9], v[44:45]
	v_add_f64 v[8:9], v[8:9], -v[44:45]
	v_add_f64 v[44:45], v[16:17], v[40:41]
	v_mul_f64 v[56:57], v[86:87], v[202:203]
	v_add_f64 v[50:51], v[10:11], v[46:47]
	v_add_f64 v[10:11], v[10:11], -v[46:47]
	v_add_f64 v[46:47], v[18:19], v[42:43]
	v_add_f64 v[16:17], v[16:17], -v[40:41]
	;; [unrolled: 2-line block ×3, first 2 shown]
	v_add_f64 v[28:29], v[44:45], v[48:49]
	v_fmac_f64_e32 v[56:57], v[84:85], v[200:201]
	v_add_f64 v[18:19], v[18:19], -v[42:43]
	v_add_f64 v[42:43], v[22:23], v[30:31]
	v_add_f64 v[22:23], v[30:31], -v[22:23]
	v_add_f64 v[30:31], v[46:47], v[50:51]
	v_add_f64 v[84:85], v[20:21], v[16:17]
	;; [unrolled: 1-line block ×3, first 2 shown]
	v_add_f64 v[78:79], v[44:45], -v[48:49]
	v_add_f64 v[48:49], v[48:49], -v[40:41]
	;; [unrolled: 1-line block ×3, first 2 shown]
	v_add_f64 v[86:87], v[22:23], v[18:19]
	v_add_f64 v[180:181], v[20:21], -v[16:17]
	v_add_f64 v[20:21], v[8:9], -v[20:21]
	;; [unrolled: 1-line block ×3, first 2 shown]
	v_add_f64 v[30:31], v[42:43], v[30:31]
	v_add_f64 v[40:41], v[84:85], v[8:9]
	;; [unrolled: 1-line block ×3, first 2 shown]
	s_mov_b32 s14, 0x37e14327
	s_mov_b32 s16, 0x36b3c0b5
	;; [unrolled: 1-line block ×5, first 2 shown]
	v_add_f64 v[82:83], v[46:47], -v[50:51]
	v_add_f64 v[50:51], v[50:51], -v[42:43]
	;; [unrolled: 1-line block ×6, first 2 shown]
	v_add_f64 v[42:43], v[86:87], v[10:11]
	v_add_f64 v[10:11], v[178:179], v[30:31]
	s_mov_b32 s15, 0x3fe948f6
	s_mov_b32 s17, 0x3fac98ee
	;; [unrolled: 1-line block ×5, first 2 shown]
	v_mov_b64_e32 v[184:185], v[8:9]
	s_mov_b32 s6, 0x5476071b
	s_mov_b32 s28, 0xb247c609
	v_mul_f64 v[48:49], v[48:49], s[14:15]
	v_mul_f64 v[50:51], v[50:51], s[14:15]
	;; [unrolled: 1-line block ×8, first 2 shown]
	v_fmac_f64_e32 v[184:185], s[26:27], v[28:29]
	v_mov_b64_e32 v[28:29], v[10:11]
	s_mov_b32 s7, 0x3fe77f67
	s_mov_b32 s21, 0xbfe77f67
	;; [unrolled: 1-line block ×7, first 2 shown]
	v_fmac_f64_e32 v[28:29], s[26:27], v[30:31]
	v_fma_f64 v[30:31], v[78:79], s[6:7], -v[84:85]
	v_fma_f64 v[84:85], v[82:83], s[6:7], -v[86:87]
	;; [unrolled: 1-line block ×3, first 2 shown]
	v_fmac_f64_e32 v[48:49], s[16:17], v[44:45]
	v_fma_f64 v[44:45], v[82:83], s[20:21], -v[50:51]
	v_fmac_f64_e32 v[50:51], s[16:17], v[46:47]
	v_fma_f64 v[46:47], v[16:17], s[0:1], -v[176:177]
	v_fma_f64 v[86:87], v[20:21], s[24:25], -v[180:181]
	;; [unrolled: 1-line block ×3, first 2 shown]
	s_mov_b32 s23, 0xbfdc38aa
	v_fmac_f64_e32 v[176:177], s[28:29], v[20:21]
	v_fma_f64 v[82:83], v[18:19], s[0:1], -v[178:179]
	v_fmac_f64_e32 v[178:179], s[28:29], v[22:23]
	v_add_f64 v[84:85], v[84:85], v[28:29]
	v_add_f64 v[78:79], v[78:79], v[184:185]
	v_fmac_f64_e32 v[46:47], s[22:23], v[40:41]
	v_fmac_f64_e32 v[180:181], s[22:23], v[42:43]
	v_add_f64 v[48:49], v[48:49], v[184:185]
	v_add_f64 v[50:51], v[50:51], v[28:29]
	;; [unrolled: 1-line block ×4, first 2 shown]
	v_fmac_f64_e32 v[176:177], s[22:23], v[40:41]
	v_fmac_f64_e32 v[178:179], s[22:23], v[42:43]
	;; [unrolled: 1-line block ×4, first 2 shown]
	v_add_f64 v[20:21], v[180:181], v[78:79]
	v_add_f64 v[30:31], v[46:47], v[84:85]
	v_add_f64 v[42:43], v[84:85], -v[46:47]
	v_add_f64 v[44:45], v[78:79], -v[180:181]
	v_add_f64 v[78:79], v[130:131], v[218:219]
	v_add_f64 v[84:85], v[130:131], -v[218:219]
	v_add_f64 v[130:131], v[226:227], v[210:211]
	v_add_f64 v[16:17], v[178:179], v[48:49]
	v_add_f64 v[18:19], v[50:51], -v[176:177]
	v_add_f64 v[22:23], v[184:185], -v[86:87]
	;; [unrolled: 1-line block ×3, first 2 shown]
	v_add_f64 v[40:41], v[82:83], v[182:183]
	v_add_f64 v[46:47], v[86:87], v[184:185]
	v_add_f64 v[48:49], v[48:49], -v[178:179]
	v_add_f64 v[50:51], v[176:177], v[50:51]
	v_add_f64 v[82:83], v[224:225], v[204:205]
	;; [unrolled: 1-line block ×3, first 2 shown]
	v_add_f64 v[178:179], v[226:227], -v[210:211]
	v_add_f64 v[182:183], v[214:215], v[222:223]
	v_add_f64 v[184:185], v[220:221], v[208:209]
	v_add_f64 v[186:187], v[222:223], -v[214:215]
	v_add_f64 v[190:191], v[130:131], v[78:79]
	v_add_f64 v[192:193], v[176:177], v[82:83]
	v_add_f64 v[194:195], v[130:131], -v[78:79]
	v_add_f64 v[196:197], v[176:177], -v[82:83]
	;; [unrolled: 1-line block ×5, first 2 shown]
	v_add_f64 v[82:83], v[186:187], v[178:179]
	v_add_f64 v[182:183], v[182:183], v[190:191]
	v_add_f64 v[86:87], v[224:225], -v[204:205]
	v_add_f64 v[180:181], v[212:213], -v[216:217]
	;; [unrolled: 1-line block ×4, first 2 shown]
	v_add_f64 v[184:185], v[184:185], v[192:193]
	v_add_f64 v[190:191], v[82:83], v[84:85]
	;; [unrolled: 1-line block ×4, first 2 shown]
	v_add_f64 v[202:203], v[186:187], -v[178:179]
	v_add_f64 v[204:205], v[188:189], -v[180:181]
	;; [unrolled: 1-line block ×5, first 2 shown]
	v_add_f64 v[84:85], v[174:175], v[184:185]
	v_mov_b64_e32 v[206:207], v[82:83]
	v_add_f64 v[188:189], v[86:87], -v[188:189]
	v_add_f64 v[86:87], v[200:201], v[86:87]
	v_mul_f64 v[78:79], v[78:79], s[14:15]
	v_mul_f64 v[172:173], v[198:199], s[14:15]
	;; [unrolled: 1-line block ×5, first 2 shown]
	v_fmac_f64_e32 v[206:207], s[26:27], v[182:183]
	v_mov_b64_e32 v[182:183], v[84:85]
	v_mul_f64 v[174:175], v[130:131], s[16:17]
	v_fmac_f64_e32 v[182:183], s[26:27], v[184:185]
	v_fma_f64 v[184:185], v[196:197], s[6:7], -v[192:193]
	v_fma_f64 v[192:193], v[194:195], s[20:21], -v[78:79]
	v_fmac_f64_e32 v[78:79], s[16:17], v[130:131]
	v_fma_f64 v[130:131], v[196:197], s[20:21], -v[172:173]
	v_fma_f64 v[196:197], v[180:181], s[0:1], -v[200:201]
	v_fmac_f64_e32 v[200:201], s[28:29], v[188:189]
	v_fma_f64 v[188:189], v[188:189], s[24:25], -v[204:205]
	v_mul_f64 v[198:199], v[202:203], s[18:19]
	v_fmac_f64_e32 v[172:173], s[16:17], v[176:177]
	v_add_f64 v[78:79], v[78:79], v[206:207]
	v_add_f64 v[192:193], v[192:193], v[206:207]
	v_fmac_f64_e32 v[200:201], s[22:23], v[86:87]
	v_fmac_f64_e32 v[188:189], s[22:23], v[86:87]
	v_mul_f64 v[202:203], v[178:179], s[0:1]
	v_fma_f64 v[174:175], v[194:195], s[6:7], -v[174:175]
	v_fma_f64 v[194:195], v[178:179], s[0:1], -v[198:199]
	v_fmac_f64_e32 v[198:199], s[28:29], v[186:187]
	v_add_f64 v[204:205], v[172:173], v[182:183]
	v_fmac_f64_e32 v[196:197], s[22:23], v[86:87]
	v_add_f64 v[172:173], v[200:201], v[78:79]
	v_add_f64 v[176:177], v[188:189], v[192:193]
	v_add_f64 v[188:189], v[192:193], -v[188:189]
	v_add_f64 v[192:193], v[78:79], -v[200:201]
	v_add_f64 v[78:79], v[56:57], v[80:81]
	v_add_f64 v[86:87], v[62:63], v[76:77]
	v_add_f64 v[62:63], v[62:63], -v[76:77]
	v_add_f64 v[76:77], v[58:59], v[66:67]
	v_fma_f64 v[202:203], v[186:187], s[24:25], -v[202:203]
	v_add_f64 v[186:187], v[174:175], v[206:207]
	v_add_f64 v[208:209], v[184:185], v[182:183]
	v_fmac_f64_e32 v[198:199], s[22:23], v[190:191]
	v_fmac_f64_e32 v[194:195], s[22:23], v[190:191]
	v_add_f64 v[56:57], v[56:57], -v[80:81]
	v_add_f64 v[80:81], v[72:73], v[74:75]
	v_add_f64 v[58:59], v[58:59], -v[66:67]
	v_add_f64 v[66:67], v[72:73], -v[74:75]
	v_add_f64 v[72:73], v[60:61], v[70:71]
	v_add_f64 v[74:75], v[68:69], v[64:65]
	v_add_f64 v[60:61], v[70:71], -v[60:61]
	v_add_f64 v[64:65], v[64:65], -v[68:69]
	v_add_f64 v[68:69], v[76:77], v[78:79]
	v_add_f64 v[130:131], v[130:131], v[182:183]
	v_fmac_f64_e32 v[202:203], s[22:23], v[190:191]
	v_add_f64 v[174:175], v[204:205], -v[198:199]
	v_add_f64 v[180:181], v[186:187], -v[196:197]
	v_add_f64 v[182:183], v[194:195], v[208:209]
	v_add_f64 v[184:185], v[196:197], v[186:187]
	v_add_f64 v[186:187], v[208:209], -v[194:195]
	v_add_f64 v[194:195], v[198:199], v[204:205]
	v_add_f64 v[70:71], v[80:81], v[86:87]
	;; [unrolled: 1-line block ×4, first 2 shown]
	v_add_f64 v[178:179], v[130:131], -v[202:203]
	v_add_f64 v[190:191], v[202:203], v[130:131]
	v_add_f64 v[130:131], v[76:77], -v[78:79]
	v_add_f64 v[78:79], v[78:79], -v[72:73]
	;; [unrolled: 1-line block ×7, first 2 shown]
	v_add_f64 v[70:71], v[74:75], v[70:71]
	v_add_f64 v[72:73], v[198:199], v[56:57]
	;; [unrolled: 1-line block ×3, first 2 shown]
	v_add_f64 v[196:197], v[80:81], -v[86:87]
	v_add_f64 v[86:87], v[86:87], -v[74:75]
	;; [unrolled: 1-line block ×3, first 2 shown]
	v_add_f64 v[58:59], v[170:171], v[70:71]
	v_mul_f64 v[198:199], v[204:205], s[18:19]
	v_mov_b64_e32 v[204:205], v[56:57]
	v_add_f64 v[200:201], v[64:65], v[66:67]
	v_add_f64 v[66:67], v[66:67], -v[62:63]
	v_mul_f64 v[74:75], v[78:79], s[14:15]
	v_mul_f64 v[78:79], v[86:87], s[14:15]
	;; [unrolled: 1-line block ×5, first 2 shown]
	v_fmac_f64_e32 v[204:205], s[26:27], v[68:69]
	v_mov_b64_e32 v[68:69], v[58:59]
	v_add_f64 v[64:65], v[62:63], -v[64:65]
	v_add_f64 v[62:63], v[200:201], v[62:63]
	v_mul_f64 v[200:201], v[206:207], s[0:1]
	v_mul_f64 v[202:203], v[66:67], s[0:1]
	v_fmac_f64_e32 v[68:69], s[26:27], v[70:71]
	v_fma_f64 v[70:71], v[130:131], s[6:7], -v[86:87]
	v_fma_f64 v[86:87], v[196:197], s[6:7], -v[168:169]
	;; [unrolled: 1-line block ×3, first 2 shown]
	v_fmac_f64_e32 v[74:75], s[16:17], v[76:77]
	v_fma_f64 v[76:77], v[196:197], s[20:21], -v[78:79]
	v_fmac_f64_e32 v[78:79], s[16:17], v[80:81]
	v_fma_f64 v[80:81], v[206:207], s[0:1], -v[170:171]
	v_fma_f64 v[168:169], v[66:67], s[0:1], -v[198:199]
	v_fmac_f64_e32 v[170:171], s[28:29], v[60:61]
	v_fma_f64 v[196:197], v[60:61], s[24:25], -v[200:201]
	v_fma_f64 v[200:201], v[64:65], s[24:25], -v[202:203]
	v_add_f64 v[202:203], v[74:75], v[204:205]
	v_add_f64 v[206:207], v[78:79], v[68:69]
	;; [unrolled: 1-line block ×4, first 2 shown]
	v_fmac_f64_e32 v[80:81], s[22:23], v[72:73]
	v_fmac_f64_e32 v[168:169], s[22:23], v[62:63]
	;; [unrolled: 1-line block ×3, first 2 shown]
	v_add_f64 v[86:87], v[130:131], v[204:205]
	v_add_f64 v[130:131], v[76:77], v[68:69]
	v_fmac_f64_e32 v[170:171], s[22:23], v[72:73]
	v_fmac_f64_e32 v[196:197], s[22:23], v[72:73]
	v_add_f64 v[68:69], v[74:75], -v[168:169]
	v_add_f64 v[70:71], v[80:81], v[78:79]
	v_add_f64 v[72:73], v[168:169], v[74:75]
	v_add_f64 v[74:75], v[78:79], -v[80:81]
	v_accvgpr_read_b32 v80, a187
	v_fmac_f64_e32 v[198:199], s[22:23], v[62:63]
	v_fmac_f64_e32 v[200:201], s[22:23], v[62:63]
	s_waitcnt lgkmcnt(0)
	; wave barrier
	ds_write_b128 v80, v[8:11]
	ds_write_b128 v80, v[16:19] offset:720
	ds_write_b128 v80, v[20:23] offset:1440
	;; [unrolled: 1-line block ×6, first 2 shown]
	v_accvgpr_read_b32 v8, a188
	v_add_f64 v[60:61], v[198:199], v[202:203]
	v_add_f64 v[62:63], v[206:207], -v[170:171]
	v_add_f64 v[64:65], v[200:201], v[86:87]
	v_add_f64 v[66:67], v[130:131], -v[196:197]
	v_add_f64 v[76:77], v[86:87], -v[200:201]
	v_add_f64 v[78:79], v[196:197], v[130:131]
	v_add_f64 v[168:169], v[202:203], -v[198:199]
	v_add_f64 v[170:171], v[170:171], v[206:207]
	ds_write_b128 v8, v[82:85]
	ds_write_b128 v8, v[172:175] offset:720
	ds_write_b128 v8, v[176:179] offset:1440
	;; [unrolled: 1-line block ×6, first 2 shown]
	ds_write_b128 v129, v[56:59]
	ds_write_b128 v129, v[60:63] offset:720
	ds_write_b128 v129, v[64:67] offset:1440
	;; [unrolled: 1-line block ×6, first 2 shown]
	s_and_saveexec_b64 s[30:31], s[2:3]
	s_cbranch_execz .LBB0_29
; %bb.28:
	v_accvgpr_read_b32 v61, a7
	v_accvgpr_read_b32 v81, a69
	;; [unrolled: 1-line block ×16, first 2 shown]
	v_mul_f64 v[8:9], v[60:61], v[166:167]
	v_accvgpr_read_b32 v79, a67
	v_accvgpr_read_b32 v78, a66
	;; [unrolled: 1-line block ×4, first 2 shown]
	v_mul_f64 v[16:17], v[80:81], v[170:171]
	v_accvgpr_read_b32 v71, a37
	v_accvgpr_read_b32 v70, a36
	v_mul_f64 v[22:23], v[72:73], v[146:147]
	v_accvgpr_read_b32 v75, a45
	v_accvgpr_read_b32 v74, a44
	;; [unrolled: 3-line block ×4, first 2 shown]
	v_mul_f64 v[42:43], v[84:85], v[150:151]
	v_fmac_f64_e32 v[8:9], v[58:59], v[164:165]
	v_fmac_f64_e32 v[16:17], v[78:79], v[168:169]
	;; [unrolled: 1-line block ×6, first 2 shown]
	v_add_f64 v[20:21], v[8:9], -v[16:17]
	v_add_f64 v[10:11], v[22:23], -v[28:29]
	;; [unrolled: 1-line block ×5, first 2 shown]
	v_add_f64 v[10:11], v[10:11], v[44:45]
	v_add_f64 v[50:51], v[10:11], v[20:21]
	v_mul_f64 v[10:11], v[80:81], v[168:169]
	v_fma_f64 v[56:57], v[78:79], v[170:171], -v[10:11]
	v_mul_f64 v[10:11], v[60:61], v[164:165]
	v_fma_f64 v[58:59], v[58:59], v[166:167], -v[10:11]
	v_mul_f64 v[10:11], v[84:85], v[148:149]
	v_mul_f64 v[46:47], v[18:19], s[18:19]
	v_fma_f64 v[62:63], v[82:83], v[150:151], -v[10:11]
	v_mul_f64 v[10:11], v[66:67], v[152:153]
	v_mul_f64 v[18:19], v[76:77], v[160:161]
	v_fma_f64 v[64:65], v[64:65], v[154:155], -v[10:11]
	v_fma_f64 v[68:69], v[74:75], v[162:163], -v[18:19]
	v_mul_f64 v[18:19], v[72:73], v[144:145]
	v_add_f64 v[60:61], v[58:59], v[56:57]
	v_add_f64 v[66:67], v[64:65], v[62:63]
	v_fma_f64 v[70:71], v[70:71], v[146:147], -v[18:19]
	v_add_f64 v[80:81], v[8:9], v[16:17]
	v_add_f64 v[40:41], v[40:41], v[42:43]
	;; [unrolled: 1-line block ×10, first 2 shown]
	v_mov_b64_e32 v[74:75], v[10:11]
	v_mov_b64_e32 v[28:29], v[8:9]
	v_add_f64 v[44:45], v[44:45], -v[20:21]
	v_fmac_f64_e32 v[74:75], s[26:27], v[72:73]
	v_add_f64 v[72:73], v[60:61], -v[18:19]
	v_fmac_f64_e32 v[28:29], s[26:27], v[22:23]
	v_add_f64 v[22:23], v[80:81], -v[16:17]
	v_mul_f64 v[20:21], v[44:45], s[0:1]
	v_fma_f64 v[48:49], s[28:29], v[30:31], v[46:47]
	v_mul_f64 v[72:73], v[72:73], s[14:15]
	v_mul_f64 v[42:43], v[22:23], s[14:15]
	v_add_f64 v[16:17], v[16:17], -v[40:41]
	v_fma_f64 v[86:87], v[30:31], s[24:25], -v[20:21]
	v_add_f64 v[30:31], v[66:67], -v[60:61]
	v_mul_f64 v[82:83], v[16:17], s[16:17]
	v_fma_f64 v[16:17], s[16:17], v[16:17], v[42:43]
	v_add_f64 v[56:57], v[58:59], -v[56:57]
	v_add_f64 v[62:63], v[64:65], -v[62:63]
	v_fma_f64 v[20:21], v[30:31], s[20:21], -v[72:73]
	v_add_f64 v[40:41], v[40:41], -v[80:81]
	v_add_f64 v[18:19], v[18:19], -v[66:67]
	v_add_f64 v[84:85], v[16:17], v[28:29]
	v_add_f64 v[16:17], v[70:71], -v[68:69]
	v_add_f64 v[60:61], v[20:21], v[74:75]
	v_fma_f64 v[20:21], v[40:41], s[20:21], -v[42:43]
	v_add_f64 v[42:43], v[62:63], -v[56:57]
	v_mul_f64 v[76:77], v[18:19], s[16:17]
	v_add_f64 v[58:59], v[56:57], -v[16:17]
	v_add_f64 v[22:23], v[16:17], -v[62:63]
	v_add_f64 v[16:17], v[16:17], v[62:63]
	v_add_f64 v[66:67], v[20:21], v[28:29]
	v_mul_f64 v[20:21], v[42:43], s[0:1]
	v_mul_f64 v[64:65], v[22:23], s[18:19]
	v_add_f64 v[70:71], v[16:17], v[56:57]
	v_fma_f64 v[56:57], v[58:59], s[24:25], -v[20:21]
	v_fma_f64 v[30:31], v[30:31], s[6:7], -v[76:77]
	;; [unrolled: 1-line block ×3, first 2 shown]
	v_fma_f64 v[68:69], s[28:29], v[58:59], v[64:65]
	v_fmac_f64_e32 v[56:57], s[22:23], v[70:71]
	v_add_f64 v[58:59], v[30:31], v[74:75]
	v_fmac_f64_e32 v[44:45], s[22:23], v[50:51]
	v_add_f64 v[20:21], v[66:67], -v[56:57]
	v_add_f64 v[30:31], v[58:59], -v[44:45]
	v_fma_f64 v[46:47], v[42:43], s[0:1], -v[64:65]
	v_add_f64 v[42:43], v[44:45], v[58:59]
	v_add_f64 v[44:45], v[56:57], v[66:67]
	scratch_load_dword v57, off, off offset:388 ; 4-byte Folded Reload
	v_fma_f64 v[18:19], s[16:17], v[18:19], v[72:73]
	v_fma_f64 v[40:41], v[40:41], s[6:7], -v[82:83]
	v_mov_b32_e32 v56, 4
	v_fmac_f64_e32 v[48:49], s[22:23], v[50:51]
	v_add_f64 v[78:79], v[18:19], v[74:75]
	v_fmac_f64_e32 v[68:69], s[22:23], v[70:71]
	v_fmac_f64_e32 v[86:87], s[22:23], v[50:51]
	v_add_f64 v[40:41], v[40:41], v[28:29]
	v_fmac_f64_e32 v[46:47], s[22:23], v[70:71]
	v_add_f64 v[18:19], v[48:49], v[78:79]
	v_add_f64 v[16:17], v[84:85], -v[68:69]
	v_add_f64 v[22:23], v[86:87], v[60:61]
	v_add_f64 v[28:29], v[46:47], v[40:41]
	v_add_f64 v[40:41], v[40:41], -v[46:47]
	v_add_f64 v[46:47], v[60:61], -v[86:87]
	;; [unrolled: 1-line block ×3, first 2 shown]
	v_add_f64 v[48:49], v[68:69], v[84:85]
	s_waitcnt vmcnt(0)
	v_lshlrev_b32_sdwa v56, v56, v57 dst_sel:DWORD dst_unused:UNUSED_PAD src0_sel:DWORD src1_sel:BYTE_0
	ds_write_b128 v56, v[8:11] offset:20160
	ds_write_b128 v56, v[48:51] offset:20880
	;; [unrolled: 1-line block ×7, first 2 shown]
.LBB0_29:
	s_or_b64 exec, exec, s[30:31]
	s_waitcnt lgkmcnt(0)
	; wave barrier
	s_waitcnt lgkmcnt(0)
	ds_read_b128 v[44:47], v128 offset:5040
	ds_read_b128 v[8:11], v128
	ds_read_b128 v[16:19], v128 offset:1008
	ds_read_b128 v[48:51], v128 offset:10080
	ds_read_b128 v[58:61], v128 offset:11088
	ds_read_b128 v[62:65], v128 offset:20160
	ds_read_b128 v[66:69], v128 offset:21168
	ds_read_b128 v[70:73], v128 offset:6048
	ds_read_b128 v[74:77], v128 offset:7056
	ds_read_b128 v[144:147], v128 offset:16128
	ds_read_b128 v[148:151], v128 offset:17136
	ds_read_b128 v[28:31], v128 offset:2016
	ds_read_b128 v[20:23], v128 offset:3024
	ds_read_b128 v[40:43], v128 offset:4032
	s_waitcnt lgkmcnt(13)
	v_mul_f64 v[152:153], v[90:91], v[46:47]
	v_fmac_f64_e32 v[152:153], v[88:89], v[44:45]
	v_mul_f64 v[44:45], v[90:91], v[44:45]
	v_fma_f64 v[154:155], v[88:89], v[46:47], -v[44:45]
	ds_read_b128 v[44:47], v128 offset:15120
	ds_read_b128 v[88:91], v128 offset:14112
	s_waitcnt lgkmcnt(12)
	v_mul_f64 v[156:157], v[6:7], v[50:51]
	v_mul_f64 v[6:7], v[6:7], v[48:49]
	v_fmac_f64_e32 v[156:157], v[4:5], v[48:49]
	s_waitcnt lgkmcnt(1)
	v_mul_f64 v[158:159], v[2:3], v[46:47]
	v_mul_f64 v[2:3], v[2:3], v[44:45]
	v_fma_f64 v[48:49], v[4:5], v[50:51], -v[6:7]
	v_fmac_f64_e32 v[158:159], v[0:1], v[44:45]
	v_fma_f64 v[44:45], v[0:1], v[46:47], -v[2:3]
	ds_read_b128 v[0:3], v128 offset:12096
	ds_read_b128 v[4:7], v128 offset:13104
	v_mul_f64 v[46:47], v[94:95], v[62:63]
	v_mul_f64 v[166:167], v[34:35], v[68:69]
	;; [unrolled: 1-line block ×3, first 2 shown]
	v_fma_f64 v[162:163], v[92:93], v[64:65], -v[46:47]
	v_mul_f64 v[46:47], v[26:27], v[72:73]
	v_mul_f64 v[26:27], v[26:27], v[70:71]
	v_fmac_f64_e32 v[166:167], v[32:33], v[66:67]
	v_mul_f64 v[34:35], v[34:35], v[66:67]
	s_waitcnt lgkmcnt(1)
	v_mul_f64 v[66:67], v[110:111], v[2:3]
	v_fmac_f64_e32 v[160:161], v[92:93], v[62:63]
	v_fmac_f64_e32 v[46:47], v[24:25], v[70:71]
	v_fma_f64 v[56:57], v[24:25], v[72:73], -v[26:27]
	ds_read_b128 v[24:27], v128 offset:22176
	ds_read_b128 v[92:95], v128 offset:23184
	v_mul_f64 v[50:51], v[38:39], v[60:61]
	v_mul_f64 v[38:39], v[38:39], v[58:59]
	;; [unrolled: 1-line block ×4, first 2 shown]
	v_fma_f64 v[64:65], v[32:33], v[68:69], -v[34:35]
	v_mul_f64 v[32:33], v[102:103], v[74:75]
	v_fmac_f64_e32 v[66:67], v[108:109], v[0:1]
	v_mul_f64 v[0:1], v[110:111], v[0:1]
	v_fmac_f64_e32 v[50:51], v[36:37], v[58:59]
	v_fma_f64 v[58:59], v[36:37], v[60:61], -v[38:39]
	v_fmac_f64_e32 v[164:165], v[12:13], v[144:145]
	v_fma_f64 v[60:61], v[12:13], v[146:147], -v[14:15]
	ds_read_b128 v[12:15], v128 offset:8064
	ds_read_b128 v[36:39], v128 offset:9072
	v_fma_f64 v[68:69], v[100:101], v[76:77], -v[32:33]
	ds_read_b128 v[32:35], v128 offset:18144
	ds_read_b128 v[144:147], v128 offset:19152
	v_fma_f64 v[70:71], v[108:109], v[2:3], -v[0:1]
	ds_read_b128 v[0:3], v128 offset:24192
	s_waitcnt lgkmcnt(6)
	v_mul_f64 v[130:131], v[106:107], v[26:27]
	v_mul_f64 v[110:111], v[126:127], v[6:7]
	;; [unrolled: 1-line block ×3, first 2 shown]
	v_fmac_f64_e32 v[130:131], v[104:105], v[24:25]
	v_mul_f64 v[24:25], v[106:107], v[24:25]
	v_fmac_f64_e32 v[110:111], v[124:125], v[4:5]
	v_mul_f64 v[4:5], v[126:127], v[4:5]
	v_fmac_f64_e32 v[62:63], v[100:101], v[74:75]
	v_fma_f64 v[74:75], v[104:105], v[26:27], -v[24:25]
	s_waitcnt lgkmcnt(4)
	v_mul_f64 v[78:79], v[114:115], v[14:15]
	v_fma_f64 v[104:105], v[124:125], v[6:7], -v[4:5]
	s_waitcnt lgkmcnt(2)
	v_mul_f64 v[4:5], v[118:119], v[32:33]
	s_waitcnt lgkmcnt(0)
	v_mul_f64 v[100:101], v[138:139], v[2:3]
	v_fmac_f64_e32 v[78:79], v[112:113], v[12:13]
	v_mul_f64 v[12:13], v[114:115], v[12:13]
	v_fma_f64 v[106:107], v[116:117], v[34:35], -v[4:5]
	v_mul_f64 v[114:115], v[122:123], v[94:95]
	v_mul_f64 v[4:5], v[122:123], v[92:93]
	v_fmac_f64_e32 v[100:101], v[136:137], v[0:1]
	v_mul_f64 v[0:1], v[138:139], v[0:1]
	v_mul_f64 v[76:77], v[98:99], v[150:151]
	;; [unrolled: 1-line block ×3, first 2 shown]
	v_fmac_f64_e32 v[114:115], v[120:121], v[92:93]
	v_fma_f64 v[108:109], v[120:121], v[94:95], -v[4:5]
	v_mul_f64 v[4:5], v[54:55], v[36:37]
	v_fma_f64 v[92:93], v[136:137], v[2:3], -v[0:1]
	v_add_f64 v[0:1], v[8:9], v[152:153]
	v_fmac_f64_e32 v[76:77], v[96:97], v[148:149]
	v_fma_f64 v[72:73], v[96:97], v[150:151], -v[72:73]
	v_fma_f64 v[86:87], v[52:53], v[38:39], -v[4:5]
	v_mul_f64 v[96:97], v[142:143], v[90:91]
	v_mul_f64 v[4:5], v[142:143], v[88:89]
	v_add_f64 v[0:1], v[0:1], v[156:157]
	v_accvgpr_read_b32 v168, a56
	v_fmac_f64_e32 v[96:97], v[140:141], v[88:89]
	v_fma_f64 v[88:89], v[140:141], v[90:91], -v[4:5]
	v_mul_f64 v[4:5], v[134:135], v[144:145]
	v_add_f64 v[0:1], v[0:1], v[158:159]
	v_mad_u64_u32 v[82:83], s[0:1], s10, v168, 0
	v_fma_f64 v[90:91], v[132:133], v[146:147], -v[4:5]
	v_add_f64 v[4:5], v[0:1], v[160:161]
	v_add_f64 v[0:1], v[156:157], v[158:159]
	s_mov_b32 s2, 0x134454ff
	v_mov_b32_e32 v80, s12
	v_mov_b32_e32 v81, s13
	v_fma_f64 v[0:1], -0.5, v[0:1], v[8:9]
	v_add_f64 v[2:3], v[154:155], -v[162:163]
	s_mov_b32 s3, 0xbfee6f0e
	s_mov_b32 s0, 0x4755a5e
	;; [unrolled: 1-line block ×4, first 2 shown]
	v_fma_f64 v[102:103], v[112:113], v[14:15], -v[12:13]
	v_fma_f64 v[12:13], s[2:3], v[2:3], v[0:1]
	v_add_f64 v[6:7], v[48:49], -v[44:45]
	s_mov_b32 s1, 0xbfe2cf23
	v_add_f64 v[14:15], v[152:153], -v[156:157]
	v_add_f64 v[24:25], v[160:161], -v[158:159]
	s_mov_b32 s6, 0x372fe950
	v_fmac_f64_e32 v[0:1], s[12:13], v[2:3]
	s_mov_b32 s15, 0x3fe2cf23
	s_mov_b32 s14, s0
	v_fmac_f64_e32 v[12:13], s[0:1], v[6:7]
	v_add_f64 v[14:15], v[14:15], v[24:25]
	s_mov_b32 s7, 0x3fd3c6ef
	v_fmac_f64_e32 v[0:1], s[14:15], v[6:7]
	v_fmac_f64_e32 v[12:13], s[6:7], v[14:15]
	;; [unrolled: 1-line block ×3, first 2 shown]
	v_add_f64 v[14:15], v[152:153], v[160:161]
	v_fmac_f64_e32 v[8:9], -0.5, v[14:15]
	v_fma_f64 v[24:25], s[12:13], v[6:7], v[8:9]
	v_fmac_f64_e32 v[8:9], s[2:3], v[6:7]
	v_fmac_f64_e32 v[24:25], s[0:1], v[2:3]
	;; [unrolled: 1-line block ×3, first 2 shown]
	v_add_f64 v[2:3], v[10:11], v[154:155]
	v_add_f64 v[2:3], v[2:3], v[48:49]
	;; [unrolled: 1-line block ×3, first 2 shown]
	v_mul_f64 v[112:113], v[118:119], v[34:35]
	v_add_f64 v[14:15], v[156:157], -v[152:153]
	v_add_f64 v[26:27], v[158:159], -v[160:161]
	v_add_f64 v[6:7], v[2:3], v[162:163]
	v_add_f64 v[2:3], v[48:49], v[44:45]
	v_fmac_f64_e32 v[112:113], v[116:117], v[32:33]
	v_mul_f64 v[94:95], v[54:55], v[38:39]
	v_add_f64 v[14:15], v[14:15], v[26:27]
	v_fma_f64 v[2:3], -0.5, v[2:3], v[10:11]
	v_add_f64 v[32:33], v[152:153], -v[160:161]
	v_fmac_f64_e32 v[94:95], v[52:53], v[36:37]
	v_fmac_f64_e32 v[24:25], s[6:7], v[14:15]
	;; [unrolled: 1-line block ×3, first 2 shown]
	v_fma_f64 v[14:15], s[12:13], v[32:33], v[2:3]
	v_add_f64 v[34:35], v[156:157], -v[158:159]
	v_add_f64 v[26:27], v[154:155], -v[48:49]
	;; [unrolled: 1-line block ×3, first 2 shown]
	v_fmac_f64_e32 v[2:3], s[2:3], v[32:33]
	v_fmac_f64_e32 v[14:15], s[14:15], v[34:35]
	v_add_f64 v[26:27], v[26:27], v[36:37]
	v_fmac_f64_e32 v[2:3], s[0:1], v[34:35]
	v_fmac_f64_e32 v[14:15], s[6:7], v[26:27]
	;; [unrolled: 1-line block ×3, first 2 shown]
	v_add_f64 v[26:27], v[154:155], v[162:163]
	v_fmac_f64_e32 v[10:11], -0.5, v[26:27]
	v_fma_f64 v[26:27], s[2:3], v[34:35], v[10:11]
	v_fmac_f64_e32 v[10:11], s[12:13], v[34:35]
	v_fmac_f64_e32 v[26:27], s[14:15], v[32:33]
	;; [unrolled: 1-line block ×3, first 2 shown]
	v_add_f64 v[32:33], v[16:17], v[46:47]
	v_add_f64 v[36:37], v[48:49], -v[154:155]
	v_add_f64 v[38:39], v[44:45], -v[162:163]
	v_add_f64 v[32:33], v[32:33], v[50:51]
	v_add_f64 v[36:37], v[36:37], v[38:39]
	;; [unrolled: 1-line block ×3, first 2 shown]
	v_fmac_f64_e32 v[26:27], s[6:7], v[36:37]
	v_fmac_f64_e32 v[10:11], s[6:7], v[36:37]
	v_add_f64 v[36:37], v[32:33], v[166:167]
	v_add_f64 v[32:33], v[50:51], v[164:165]
	v_fma_f64 v[32:33], -0.5, v[32:33], v[16:17]
	v_add_f64 v[34:35], v[56:57], -v[64:65]
	v_fma_f64 v[44:45], s[2:3], v[34:35], v[32:33]
	v_add_f64 v[38:39], v[58:59], -v[60:61]
	v_add_f64 v[48:49], v[46:47], -v[50:51]
	;; [unrolled: 1-line block ×3, first 2 shown]
	v_fmac_f64_e32 v[32:33], s[12:13], v[34:35]
	v_fmac_f64_e32 v[44:45], s[0:1], v[38:39]
	v_add_f64 v[48:49], v[48:49], v[52:53]
	v_fmac_f64_e32 v[32:33], s[14:15], v[38:39]
	v_fmac_f64_e32 v[44:45], s[6:7], v[48:49]
	v_fmac_f64_e32 v[32:33], s[6:7], v[48:49]
	v_add_f64 v[48:49], v[46:47], v[166:167]
	v_fmac_f64_e32 v[16:17], -0.5, v[48:49]
	v_fma_f64 v[48:49], s[12:13], v[38:39], v[16:17]
	v_fmac_f64_e32 v[16:17], s[2:3], v[38:39]
	v_fmac_f64_e32 v[48:49], s[0:1], v[34:35]
	v_fmac_f64_e32 v[16:17], s[14:15], v[34:35]
	v_add_f64 v[34:35], v[18:19], v[56:57]
	v_add_f64 v[34:35], v[34:35], v[58:59]
	v_add_f64 v[52:53], v[50:51], -v[46:47]
	v_add_f64 v[54:55], v[164:165], -v[166:167]
	v_add_f64 v[34:35], v[34:35], v[60:61]
	v_add_f64 v[52:53], v[52:53], v[54:55]
	;; [unrolled: 1-line block ×4, first 2 shown]
	v_fmac_f64_e32 v[48:49], s[6:7], v[52:53]
	v_fmac_f64_e32 v[16:17], s[6:7], v[52:53]
	v_fma_f64 v[34:35], -0.5, v[34:35], v[18:19]
	v_add_f64 v[52:53], v[46:47], -v[166:167]
	v_fma_f64 v[46:47], s[12:13], v[52:53], v[34:35]
	v_add_f64 v[54:55], v[50:51], -v[164:165]
	v_add_f64 v[50:51], v[56:57], -v[58:59]
	;; [unrolled: 1-line block ×3, first 2 shown]
	v_fmac_f64_e32 v[34:35], s[2:3], v[52:53]
	v_fmac_f64_e32 v[46:47], s[14:15], v[54:55]
	v_add_f64 v[50:51], v[50:51], v[116:117]
	v_fmac_f64_e32 v[34:35], s[0:1], v[54:55]
	v_fmac_f64_e32 v[46:47], s[6:7], v[50:51]
	;; [unrolled: 1-line block ×3, first 2 shown]
	v_add_f64 v[50:51], v[56:57], v[64:65]
	v_fmac_f64_e32 v[18:19], -0.5, v[50:51]
	v_fma_f64 v[50:51], s[2:3], v[54:55], v[18:19]
	v_fmac_f64_e32 v[18:19], s[12:13], v[54:55]
	v_fmac_f64_e32 v[50:51], s[14:15], v[52:53]
	;; [unrolled: 1-line block ×3, first 2 shown]
	v_add_f64 v[52:53], v[28:29], v[62:63]
	v_add_f64 v[56:57], v[58:59], -v[56:57]
	v_add_f64 v[58:59], v[60:61], -v[64:65]
	v_add_f64 v[52:53], v[52:53], v[66:67]
	v_add_f64 v[56:57], v[56:57], v[58:59]
	;; [unrolled: 1-line block ×3, first 2 shown]
	v_fmac_f64_e32 v[50:51], s[6:7], v[56:57]
	v_fmac_f64_e32 v[18:19], s[6:7], v[56:57]
	v_add_f64 v[56:57], v[52:53], v[130:131]
	v_add_f64 v[52:53], v[66:67], v[76:77]
	v_fma_f64 v[52:53], -0.5, v[52:53], v[28:29]
	v_add_f64 v[54:55], v[68:69], -v[74:75]
	v_fma_f64 v[60:61], s[2:3], v[54:55], v[52:53]
	v_add_f64 v[58:59], v[70:71], -v[72:73]
	v_add_f64 v[64:65], v[62:63], -v[66:67]
	;; [unrolled: 1-line block ×3, first 2 shown]
	v_fmac_f64_e32 v[52:53], s[12:13], v[54:55]
	v_fmac_f64_e32 v[60:61], s[0:1], v[58:59]
	v_add_f64 v[64:65], v[64:65], v[116:117]
	v_fmac_f64_e32 v[52:53], s[14:15], v[58:59]
	v_fmac_f64_e32 v[60:61], s[6:7], v[64:65]
	v_fmac_f64_e32 v[52:53], s[6:7], v[64:65]
	v_add_f64 v[64:65], v[62:63], v[130:131]
	v_fmac_f64_e32 v[28:29], -0.5, v[64:65]
	v_fma_f64 v[64:65], s[12:13], v[58:59], v[28:29]
	v_fmac_f64_e32 v[28:29], s[2:3], v[58:59]
	v_fmac_f64_e32 v[64:65], s[0:1], v[54:55]
	;; [unrolled: 1-line block ×3, first 2 shown]
	v_add_f64 v[54:55], v[30:31], v[68:69]
	v_add_f64 v[54:55], v[54:55], v[70:71]
	v_add_f64 v[116:117], v[66:67], -v[62:63]
	v_add_f64 v[118:119], v[76:77], -v[130:131]
	v_add_f64 v[54:55], v[54:55], v[72:73]
	v_add_f64 v[116:117], v[116:117], v[118:119]
	;; [unrolled: 1-line block ×4, first 2 shown]
	v_fmac_f64_e32 v[64:65], s[6:7], v[116:117]
	v_fmac_f64_e32 v[28:29], s[6:7], v[116:117]
	v_fma_f64 v[54:55], -0.5, v[54:55], v[30:31]
	v_add_f64 v[116:117], v[62:63], -v[130:131]
	v_fma_f64 v[62:63], s[12:13], v[116:117], v[54:55]
	v_add_f64 v[76:77], v[66:67], -v[76:77]
	v_add_f64 v[66:67], v[68:69], -v[70:71]
	;; [unrolled: 1-line block ×3, first 2 shown]
	v_fmac_f64_e32 v[54:55], s[2:3], v[116:117]
	v_fmac_f64_e32 v[62:63], s[14:15], v[76:77]
	v_add_f64 v[66:67], v[66:67], v[118:119]
	v_fmac_f64_e32 v[54:55], s[0:1], v[76:77]
	v_fmac_f64_e32 v[62:63], s[6:7], v[66:67]
	;; [unrolled: 1-line block ×3, first 2 shown]
	v_add_f64 v[66:67], v[68:69], v[74:75]
	v_fmac_f64_e32 v[30:31], -0.5, v[66:67]
	v_fma_f64 v[66:67], s[2:3], v[76:77], v[30:31]
	v_add_f64 v[68:69], v[70:71], -v[68:69]
	v_add_f64 v[70:71], v[72:73], -v[74:75]
	v_fmac_f64_e32 v[30:31], s[12:13], v[76:77]
	v_fmac_f64_e32 v[66:67], s[14:15], v[116:117]
	v_add_f64 v[68:69], v[68:69], v[70:71]
	v_fmac_f64_e32 v[30:31], s[0:1], v[116:117]
	v_fmac_f64_e32 v[66:67], s[6:7], v[68:69]
	;; [unrolled: 1-line block ×3, first 2 shown]
	v_add_f64 v[68:69], v[20:21], v[78:79]
	v_add_f64 v[68:69], v[68:69], v[110:111]
	;; [unrolled: 1-line block ×5, first 2 shown]
	v_fma_f64 v[68:69], -0.5, v[68:69], v[20:21]
	v_add_f64 v[70:71], v[102:103], -v[108:109]
	v_fma_f64 v[76:77], s[2:3], v[70:71], v[68:69]
	v_add_f64 v[74:75], v[104:105], -v[106:107]
	v_add_f64 v[116:117], v[78:79], -v[110:111]
	;; [unrolled: 1-line block ×3, first 2 shown]
	v_fmac_f64_e32 v[68:69], s[12:13], v[70:71]
	v_fmac_f64_e32 v[76:77], s[0:1], v[74:75]
	v_add_f64 v[116:117], v[116:117], v[118:119]
	v_fmac_f64_e32 v[68:69], s[14:15], v[74:75]
	v_fmac_f64_e32 v[76:77], s[6:7], v[116:117]
	v_fmac_f64_e32 v[68:69], s[6:7], v[116:117]
	v_add_f64 v[116:117], v[78:79], v[114:115]
	v_fmac_f64_e32 v[20:21], -0.5, v[116:117]
	v_fma_f64 v[116:117], s[12:13], v[74:75], v[20:21]
	v_fmac_f64_e32 v[20:21], s[2:3], v[74:75]
	v_fmac_f64_e32 v[116:117], s[0:1], v[70:71]
	;; [unrolled: 1-line block ×3, first 2 shown]
	v_add_f64 v[70:71], v[22:23], v[102:103]
	v_add_f64 v[70:71], v[70:71], v[104:105]
	;; [unrolled: 1-line block ×3, first 2 shown]
	v_add_f64 v[118:119], v[110:111], -v[78:79]
	v_add_f64 v[120:121], v[112:113], -v[114:115]
	v_add_f64 v[74:75], v[70:71], v[108:109]
	v_add_f64 v[70:71], v[104:105], v[106:107]
	;; [unrolled: 1-line block ×3, first 2 shown]
	v_fma_f64 v[70:71], -0.5, v[70:71], v[22:23]
	v_add_f64 v[114:115], v[78:79], -v[114:115]
	v_fmac_f64_e32 v[116:117], s[6:7], v[118:119]
	v_fmac_f64_e32 v[20:21], s[6:7], v[118:119]
	v_fma_f64 v[78:79], s[12:13], v[114:115], v[70:71]
	v_add_f64 v[110:111], v[110:111], -v[112:113]
	v_add_f64 v[112:113], v[102:103], -v[104:105]
	;; [unrolled: 1-line block ×3, first 2 shown]
	v_fmac_f64_e32 v[70:71], s[2:3], v[114:115]
	v_mul_f64 v[98:99], v[134:135], v[146:147]
	v_fmac_f64_e32 v[78:79], s[14:15], v[110:111]
	v_add_f64 v[112:113], v[112:113], v[118:119]
	v_fmac_f64_e32 v[70:71], s[0:1], v[110:111]
	v_fmac_f64_e32 v[98:99], v[132:133], v[144:145]
	;; [unrolled: 1-line block ×4, first 2 shown]
	v_add_f64 v[112:113], v[102:103], v[108:109]
	v_add_f64 v[102:103], v[104:105], -v[102:103]
	v_add_f64 v[104:105], v[106:107], -v[108:109]
	v_fmac_f64_e32 v[22:23], -0.5, v[112:113]
	v_add_f64 v[102:103], v[102:103], v[104:105]
	v_add_f64 v[104:105], v[96:97], v[98:99]
	v_fma_f64 v[118:119], s[2:3], v[110:111], v[22:23]
	v_fmac_f64_e32 v[22:23], s[12:13], v[110:111]
	v_fma_f64 v[106:107], -0.5, v[104:105], v[40:41]
	v_add_f64 v[104:105], v[86:87], -v[92:93]
	v_fmac_f64_e32 v[118:119], s[14:15], v[114:115]
	v_fmac_f64_e32 v[22:23], s[0:1], v[114:115]
	v_fma_f64 v[110:111], s[2:3], v[104:105], v[106:107]
	v_add_f64 v[108:109], v[88:89], -v[90:91]
	v_add_f64 v[112:113], v[94:95], -v[96:97]
	;; [unrolled: 1-line block ×3, first 2 shown]
	v_fmac_f64_e32 v[106:107], s[12:13], v[104:105]
	v_fmac_f64_e32 v[110:111], s[0:1], v[108:109]
	v_add_f64 v[112:113], v[112:113], v[114:115]
	v_fmac_f64_e32 v[106:107], s[14:15], v[108:109]
	v_fmac_f64_e32 v[110:111], s[6:7], v[112:113]
	;; [unrolled: 1-line block ×3, first 2 shown]
	v_add_f64 v[112:113], v[94:95], v[100:101]
	v_fmac_f64_e32 v[118:119], s[6:7], v[102:103]
	v_fmac_f64_e32 v[22:23], s[6:7], v[102:103]
	v_add_f64 v[102:103], v[40:41], v[94:95]
	v_fmac_f64_e32 v[40:41], -0.5, v[112:113]
	v_add_f64 v[102:103], v[102:103], v[96:97]
	v_fma_f64 v[120:121], s[12:13], v[108:109], v[40:41]
	v_add_f64 v[112:113], v[96:97], -v[94:95]
	v_add_f64 v[114:115], v[98:99], -v[100:101]
	v_fmac_f64_e32 v[40:41], s[2:3], v[108:109]
	v_add_f64 v[108:109], v[88:89], v[90:91]
	v_add_f64 v[102:103], v[102:103], v[98:99]
	v_fmac_f64_e32 v[120:121], s[0:1], v[104:105]
	v_add_f64 v[112:113], v[112:113], v[114:115]
	v_fmac_f64_e32 v[40:41], s[14:15], v[104:105]
	v_fma_f64 v[108:109], -0.5, v[108:109], v[42:43]
	v_add_f64 v[94:95], v[94:95], -v[100:101]
	v_add_f64 v[102:103], v[102:103], v[100:101]
	v_fmac_f64_e32 v[120:121], s[6:7], v[112:113]
	v_fmac_f64_e32 v[40:41], s[6:7], v[112:113]
	v_fma_f64 v[112:113], s[12:13], v[94:95], v[108:109]
	v_add_f64 v[96:97], v[96:97], -v[98:99]
	v_add_f64 v[98:99], v[86:87], -v[88:89]
	;; [unrolled: 1-line block ×3, first 2 shown]
	v_fmac_f64_e32 v[108:109], s[2:3], v[94:95]
	v_fmac_f64_e32 v[112:113], s[14:15], v[96:97]
	v_add_f64 v[98:99], v[98:99], v[100:101]
	v_fmac_f64_e32 v[108:109], s[0:1], v[96:97]
	v_fmac_f64_e32 v[112:113], s[6:7], v[98:99]
	;; [unrolled: 1-line block ×3, first 2 shown]
	v_add_f64 v[98:99], v[86:87], v[92:93]
	v_add_f64 v[104:105], v[42:43], v[86:87]
	v_fmac_f64_e32 v[42:43], -0.5, v[98:99]
	v_add_f64 v[104:105], v[104:105], v[88:89]
	v_fma_f64 v[122:123], s[2:3], v[96:97], v[42:43]
	v_add_f64 v[86:87], v[88:89], -v[86:87]
	v_add_f64 v[88:89], v[90:91], -v[92:93]
	v_fmac_f64_e32 v[42:43], s[12:13], v[96:97]
	v_add_f64 v[104:105], v[104:105], v[90:91]
	v_fmac_f64_e32 v[122:123], s[14:15], v[94:95]
	v_add_f64 v[86:87], v[86:87], v[88:89]
	;; [unrolled: 2-line block ×3, first 2 shown]
	v_fmac_f64_e32 v[122:123], s[6:7], v[86:87]
	v_fmac_f64_e32 v[42:43], s[6:7], v[86:87]
	ds_write_b128 v128, v[4:7]
	ds_write_b128 v128, v[12:15] offset:5040
	ds_write_b128 v128, v[24:27] offset:10080
	;; [unrolled: 1-line block ×24, first 2 shown]
	s_waitcnt lgkmcnt(0)
	; wave barrier
	s_waitcnt lgkmcnt(0)
	scratch_load_dwordx4 v[10:13], off, off offset:280 ; 16-byte Folded Reload
	scratch_load_dwordx4 v[18:21], off, off offset:200 ; 16-byte Folded Reload
	;; [unrolled: 1-line block ×3, first 2 shown]
	ds_read_b128 v[0:3], v128
	v_mov_b32_e32 v84, v83
	v_mad_u64_u32 v[4:5], s[0:1], s11, v168, v[84:85]
	v_mov_b32_e32 v83, v4
	ds_read_b128 v[4:7], v128 offset:1008
	s_mov_b32 s0, 0xae67b348
	s_mov_b32 s1, 0x3f44ce19
	v_lshl_add_u64 v[14:15], v[82:83], 4, v[80:81]
	s_mul_hi_u32 s7, s8, 0xfffffc25
	s_mul_i32 s6, s9, 0xfffffc25
	s_sub_i32 s7, s7, s8
	s_add_i32 s7, s7, s6
	s_mul_i32 s6, s8, 0xfffffc25
	s_waitcnt vmcnt(2) lgkmcnt(1)
	v_mul_f64 v[8:9], v[12:13], v[2:3]
	v_fmac_f64_e32 v[8:9], v[10:11], v[0:1]
	v_mul_f64 v[0:1], v[12:13], v[0:1]
	v_fma_f64 v[0:1], v[10:11], v[2:3], -v[0:1]
	v_accvgpr_read_b32 v2, a2
	v_mad_u64_u32 v[12:13], s[2:3], s8, v2, 0
	v_mul_f64 v[10:11], v[0:1], s[0:1]
	v_mov_b32_e32 v0, v13
	v_mad_u64_u32 v[0:1], s[2:3], s9, v2, v[0:1]
	v_mov_b32_e32 v13, v0
	ds_read_b128 v[0:3], v128 offset:8400
	v_mul_f64 v[8:9], v[8:9], s[0:1]
	v_lshl_add_u64 v[16:17], v[12:13], 4, v[14:15]
	global_store_dwordx4 v[16:17], v[8:11], off
	ds_read_b128 v[8:11], v128 offset:9408
	s_waitcnt vmcnt(2) lgkmcnt(1)
	v_mul_f64 v[12:13], v[20:21], v[2:3]
	v_fmac_f64_e32 v[12:13], v[18:19], v[0:1]
	v_mul_f64 v[0:1], v[20:21], v[0:1]
	v_fma_f64 v[0:1], v[18:19], v[2:3], -v[0:1]
	v_mul_f64 v[14:15], v[0:1], s[0:1]
	ds_read_b128 v[0:3], v128 offset:16800
	s_mul_i32 s2, s9, 0x20d
	s_mul_hi_u32 s3, s8, 0x20d
	s_add_i32 s3, s3, s2
	s_mul_i32 s2, s8, 0x20d
	s_lshl_b64 s[2:3], s[2:3], 4
	v_mul_f64 v[12:13], v[12:13], s[0:1]
	v_lshl_add_u64 v[20:21], v[16:17], 0, s[2:3]
	global_store_dwordx4 v[20:21], v[12:15], off
	ds_read_b128 v[12:15], v128 offset:17808
	s_waitcnt vmcnt(2) lgkmcnt(1)
	v_mul_f64 v[16:17], v[24:25], v[2:3]
	v_fmac_f64_e32 v[16:17], v[22:23], v[0:1]
	v_mul_f64 v[0:1], v[24:25], v[0:1]
	v_fma_f64 v[0:1], v[22:23], v[2:3], -v[0:1]
	v_mul_f64 v[16:17], v[16:17], s[0:1]
	v_mul_f64 v[18:19], v[0:1], s[0:1]
	v_lshl_add_u64 v[20:21], v[20:21], 0, s[2:3]
	global_store_dwordx4 v[20:21], v[16:19], off
	scratch_load_dwordx4 v[16:19], off, off offset:152 ; 16-byte Folded Reload
	s_lshl_b64 s[8:9], s[6:7], 4
	v_accvgpr_read_b32 v22, a98
	v_accvgpr_read_b32 v24, a100
	;; [unrolled: 1-line block ×4, first 2 shown]
	s_waitcnt vmcnt(0)
	v_mul_f64 v[0:1], v[18:19], v[6:7]
	v_mul_f64 v[2:3], v[18:19], v[4:5]
	v_fmac_f64_e32 v[0:1], v[16:17], v[4:5]
	v_fma_f64 v[2:3], v[16:17], v[6:7], -v[2:3]
	scratch_load_dwordx4 v[16:19], off, off offset:312 ; 16-byte Folded Reload
	v_mul_f64 v[0:1], v[0:1], s[0:1]
	v_mul_f64 v[2:3], v[2:3], s[0:1]
	v_lshl_add_u64 v[4:5], v[20:21], 0, s[8:9]
	global_store_dwordx4 v[4:5], v[0:3], off
	s_waitcnt vmcnt(1)
	s_nop 0
	v_mul_f64 v[0:1], v[18:19], v[10:11]
	v_mul_f64 v[2:3], v[18:19], v[8:9]
	v_fmac_f64_e32 v[0:1], v[16:17], v[8:9]
	v_fma_f64 v[2:3], v[16:17], v[10:11], -v[2:3]
	v_lshl_add_u64 v[8:9], v[4:5], 0, s[2:3]
	v_accvgpr_read_b32 v4, a70
	v_mul_f64 v[0:1], v[0:1], s[0:1]
	v_mul_f64 v[2:3], v[2:3], s[0:1]
	v_accvgpr_read_b32 v6, a72
	v_accvgpr_read_b32 v7, a73
	global_store_dwordx4 v[8:9], v[0:3], off
	v_accvgpr_read_b32 v5, a71
	v_accvgpr_read_b32 v18, a74
	s_waitcnt lgkmcnt(0)
	v_mul_f64 v[0:1], v[6:7], v[14:15]
	v_mul_f64 v[2:3], v[6:7], v[12:13]
	v_fmac_f64_e32 v[0:1], v[4:5], v[12:13]
	v_fma_f64 v[2:3], v[4:5], v[14:15], -v[2:3]
	ds_read_b128 v[4:7], v128 offset:2016
	v_accvgpr_read_b32 v14, a16
	v_mul_f64 v[0:1], v[0:1], s[0:1]
	v_mul_f64 v[2:3], v[2:3], s[0:1]
	v_lshl_add_u64 v[12:13], v[8:9], 0, s[2:3]
	v_accvgpr_read_b32 v16, a18
	v_accvgpr_read_b32 v17, a19
	global_store_dwordx4 v[12:13], v[0:3], off
	ds_read_b128 v[0:3], v128 offset:3024
	v_accvgpr_read_b32 v15, a17
	s_waitcnt lgkmcnt(1)
	v_mul_f64 v[8:9], v[16:17], v[6:7]
	v_fmac_f64_e32 v[8:9], v[14:15], v[4:5]
	v_mul_f64 v[4:5], v[16:17], v[4:5]
	v_fma_f64 v[10:11], v[14:15], v[6:7], -v[4:5]
	ds_read_b128 v[4:7], v128 offset:10416
	v_mul_f64 v[8:9], v[8:9], s[0:1]
	v_mul_f64 v[10:11], v[10:11], s[0:1]
	v_lshl_add_u64 v[16:17], v[12:13], 0, s[8:9]
	v_accvgpr_read_b32 v20, a76
	v_accvgpr_read_b32 v21, a77
	global_store_dwordx4 v[16:17], v[8:11], off
	ds_read_b128 v[8:11], v128 offset:11424
	v_accvgpr_read_b32 v19, a75
	s_waitcnt lgkmcnt(1)
	v_mul_f64 v[12:13], v[20:21], v[6:7]
	v_fmac_f64_e32 v[12:13], v[18:19], v[4:5]
	v_mul_f64 v[4:5], v[20:21], v[4:5]
	v_fma_f64 v[14:15], v[18:19], v[6:7], -v[4:5]
	ds_read_b128 v[4:7], v128 offset:18816
	v_mul_f64 v[12:13], v[12:13], s[0:1]
	v_mul_f64 v[14:15], v[14:15], s[0:1]
	v_lshl_add_u64 v[20:21], v[16:17], 0, s[2:3]
	global_store_dwordx4 v[20:21], v[12:15], off
	ds_read_b128 v[12:15], v128 offset:19824
	s_waitcnt lgkmcnt(1)
	v_mul_f64 v[16:17], v[24:25], v[6:7]
	v_fmac_f64_e32 v[16:17], v[22:23], v[4:5]
	v_mul_f64 v[4:5], v[24:25], v[4:5]
	v_fma_f64 v[4:5], v[22:23], v[6:7], -v[4:5]
	v_mul_f64 v[16:17], v[16:17], s[0:1]
	v_mul_f64 v[18:19], v[4:5], s[0:1]
	v_lshl_add_u64 v[20:21], v[20:21], 0, s[2:3]
	global_store_dwordx4 v[20:21], v[16:19], off
	scratch_load_dwordx4 v[16:19], off, off offset:360 ; 16-byte Folded Reload
	s_waitcnt vmcnt(0)
	v_mul_f64 v[4:5], v[18:19], v[2:3]
	v_fmac_f64_e32 v[4:5], v[16:17], v[0:1]
	v_mul_f64 v[0:1], v[18:19], v[0:1]
	v_fma_f64 v[0:1], v[16:17], v[2:3], -v[0:1]
	v_mul_f64 v[4:5], v[4:5], s[0:1]
	v_mul_f64 v[6:7], v[0:1], s[0:1]
	v_lshl_add_u64 v[16:17], v[20:21], 0, s[8:9]
	global_store_dwordx4 v[16:17], v[4:7], off
	scratch_load_dwordx4 v[4:7], off, off offset:344 ; 16-byte Folded Reload
	s_waitcnt vmcnt(0)
	v_mul_f64 v[0:1], v[6:7], v[10:11]
	v_mul_f64 v[2:3], v[6:7], v[8:9]
	v_fmac_f64_e32 v[0:1], v[4:5], v[8:9]
	v_fma_f64 v[2:3], v[4:5], v[10:11], -v[2:3]
	scratch_load_dwordx4 v[4:7], off, off offset:328 ; 16-byte Folded Reload
	v_mul_f64 v[0:1], v[0:1], s[0:1]
	v_mul_f64 v[2:3], v[2:3], s[0:1]
	v_lshl_add_u64 v[8:9], v[16:17], 0, s[2:3]
	global_store_dwordx4 v[8:9], v[0:3], off
	scratch_load_dwordx4 v[18:21], off, off offset:264 ; 16-byte Folded Reload
	scratch_load_dwordx4 v[22:25], off, off offset:248 ; 16-byte Folded Reload
	s_waitcnt vmcnt(3) lgkmcnt(0)
	v_mul_f64 v[2:3], v[6:7], v[12:13]
	v_mul_f64 v[0:1], v[6:7], v[14:15]
	v_fma_f64 v[2:3], v[4:5], v[14:15], -v[2:3]
	scratch_load_dwordx4 v[14:17], off, off offset:296 ; 16-byte Folded Reload
	v_fmac_f64_e32 v[0:1], v[4:5], v[12:13]
	ds_read_b128 v[4:7], v128 offset:4032
	v_mul_f64 v[0:1], v[0:1], s[0:1]
	v_mul_f64 v[2:3], v[2:3], s[0:1]
	v_lshl_add_u64 v[12:13], v[8:9], 0, s[2:3]
	global_store_dwordx4 v[12:13], v[0:3], off
	ds_read_b128 v[0:3], v128 offset:5040
	s_waitcnt vmcnt(1) lgkmcnt(1)
	v_mul_f64 v[8:9], v[16:17], v[6:7]
	v_fmac_f64_e32 v[8:9], v[14:15], v[4:5]
	v_mul_f64 v[4:5], v[16:17], v[4:5]
	v_fma_f64 v[10:11], v[14:15], v[6:7], -v[4:5]
	ds_read_b128 v[4:7], v128 offset:12432
	v_mul_f64 v[8:9], v[8:9], s[0:1]
	v_mul_f64 v[10:11], v[10:11], s[0:1]
	v_lshl_add_u64 v[16:17], v[12:13], 0, s[8:9]
	global_store_dwordx4 v[16:17], v[8:11], off
	ds_read_b128 v[8:11], v128 offset:13440
	s_waitcnt lgkmcnt(1)
	v_mul_f64 v[12:13], v[20:21], v[6:7]
	v_fmac_f64_e32 v[12:13], v[18:19], v[4:5]
	v_mul_f64 v[4:5], v[20:21], v[4:5]
	v_fma_f64 v[14:15], v[18:19], v[6:7], -v[4:5]
	ds_read_b128 v[4:7], v128 offset:20832
	v_mul_f64 v[12:13], v[12:13], s[0:1]
	v_mul_f64 v[14:15], v[14:15], s[0:1]
	v_lshl_add_u64 v[20:21], v[16:17], 0, s[2:3]
	global_store_dwordx4 v[20:21], v[12:15], off
	ds_read_b128 v[12:15], v128 offset:21840
	s_waitcnt lgkmcnt(1)
	v_mul_f64 v[16:17], v[24:25], v[6:7]
	v_fmac_f64_e32 v[16:17], v[22:23], v[4:5]
	v_mul_f64 v[4:5], v[24:25], v[4:5]
	v_fma_f64 v[4:5], v[22:23], v[6:7], -v[4:5]
	v_mul_f64 v[16:17], v[16:17], s[0:1]
	v_mul_f64 v[18:19], v[4:5], s[0:1]
	v_lshl_add_u64 v[20:21], v[20:21], 0, s[2:3]
	global_store_dwordx4 v[20:21], v[16:19], off
	scratch_load_dwordx4 v[16:19], off, off offset:232 ; 16-byte Folded Reload
	s_waitcnt vmcnt(0)
	v_mul_f64 v[4:5], v[18:19], v[2:3]
	v_fmac_f64_e32 v[4:5], v[16:17], v[0:1]
	v_mul_f64 v[0:1], v[18:19], v[0:1]
	v_fma_f64 v[0:1], v[16:17], v[2:3], -v[0:1]
	v_mul_f64 v[4:5], v[4:5], s[0:1]
	v_mul_f64 v[6:7], v[0:1], s[0:1]
	v_lshl_add_u64 v[16:17], v[20:21], 0, s[8:9]
	global_store_dwordx4 v[16:17], v[4:7], off
	scratch_load_dwordx4 v[4:7], off, off offset:216 ; 16-byte Folded Reload
	s_waitcnt vmcnt(0)
	v_mul_f64 v[0:1], v[6:7], v[10:11]
	v_mul_f64 v[2:3], v[6:7], v[8:9]
	v_fmac_f64_e32 v[0:1], v[4:5], v[8:9]
	v_fma_f64 v[2:3], v[4:5], v[10:11], -v[2:3]
	scratch_load_dwordx4 v[4:7], off, off offset:184 ; 16-byte Folded Reload
	v_mul_f64 v[0:1], v[0:1], s[0:1]
	v_mul_f64 v[2:3], v[2:3], s[0:1]
	v_lshl_add_u64 v[8:9], v[16:17], 0, s[2:3]
	global_store_dwordx4 v[8:9], v[0:3], off
	scratch_load_dwordx4 v[18:21], off, off offset:120 ; 16-byte Folded Reload
	scratch_load_dwordx4 v[22:25], off, off offset:104 ; 16-byte Folded Reload
	s_waitcnt vmcnt(3) lgkmcnt(0)
	v_mul_f64 v[2:3], v[6:7], v[12:13]
	v_mul_f64 v[0:1], v[6:7], v[14:15]
	v_fma_f64 v[2:3], v[4:5], v[14:15], -v[2:3]
	scratch_load_dwordx4 v[14:17], off, off offset:136 ; 16-byte Folded Reload
	v_fmac_f64_e32 v[0:1], v[4:5], v[12:13]
	ds_read_b128 v[4:7], v128 offset:6048
	v_mul_f64 v[0:1], v[0:1], s[0:1]
	v_mul_f64 v[2:3], v[2:3], s[0:1]
	v_lshl_add_u64 v[12:13], v[8:9], 0, s[2:3]
	global_store_dwordx4 v[12:13], v[0:3], off
	ds_read_b128 v[0:3], v128 offset:7056
	s_waitcnt vmcnt(1) lgkmcnt(1)
	v_mul_f64 v[8:9], v[16:17], v[6:7]
	v_fmac_f64_e32 v[8:9], v[14:15], v[4:5]
	v_mul_f64 v[4:5], v[16:17], v[4:5]
	v_fma_f64 v[10:11], v[14:15], v[6:7], -v[4:5]
	ds_read_b128 v[4:7], v128 offset:14448
	v_mul_f64 v[8:9], v[8:9], s[0:1]
	v_mul_f64 v[10:11], v[10:11], s[0:1]
	v_lshl_add_u64 v[16:17], v[12:13], 0, s[8:9]
	global_store_dwordx4 v[16:17], v[8:11], off
	ds_read_b128 v[8:11], v128 offset:15456
	s_waitcnt lgkmcnt(1)
	v_mul_f64 v[12:13], v[20:21], v[6:7]
	v_fmac_f64_e32 v[12:13], v[18:19], v[4:5]
	v_mul_f64 v[4:5], v[20:21], v[4:5]
	v_fma_f64 v[14:15], v[18:19], v[6:7], -v[4:5]
	ds_read_b128 v[4:7], v128 offset:22848
	v_mul_f64 v[12:13], v[12:13], s[0:1]
	v_mul_f64 v[14:15], v[14:15], s[0:1]
	v_lshl_add_u64 v[20:21], v[16:17], 0, s[2:3]
	global_store_dwordx4 v[20:21], v[12:15], off
	ds_read_b128 v[12:15], v128 offset:23856
	s_waitcnt lgkmcnt(1)
	v_mul_f64 v[16:17], v[24:25], v[6:7]
	v_fmac_f64_e32 v[16:17], v[22:23], v[4:5]
	v_mul_f64 v[4:5], v[24:25], v[4:5]
	v_fma_f64 v[4:5], v[22:23], v[6:7], -v[4:5]
	v_mul_f64 v[16:17], v[16:17], s[0:1]
	v_mul_f64 v[18:19], v[4:5], s[0:1]
	v_lshl_add_u64 v[20:21], v[20:21], 0, s[2:3]
	global_store_dwordx4 v[20:21], v[16:19], off
	scratch_load_dwordx4 v[16:19], off, off offset:88 ; 16-byte Folded Reload
	s_waitcnt vmcnt(0)
	v_mul_f64 v[4:5], v[18:19], v[2:3]
	v_fmac_f64_e32 v[4:5], v[16:17], v[0:1]
	v_mul_f64 v[0:1], v[18:19], v[0:1]
	v_fma_f64 v[0:1], v[16:17], v[2:3], -v[0:1]
	v_mul_f64 v[4:5], v[4:5], s[0:1]
	v_mul_f64 v[6:7], v[0:1], s[0:1]
	v_lshl_add_u64 v[16:17], v[20:21], 0, s[8:9]
	global_store_dwordx4 v[16:17], v[4:7], off
	scratch_load_dwordx4 v[4:7], off, off offset:36 ; 16-byte Folded Reload
	s_waitcnt vmcnt(0)
	v_mul_f64 v[0:1], v[6:7], v[10:11]
	v_mul_f64 v[2:3], v[6:7], v[8:9]
	v_fmac_f64_e32 v[0:1], v[4:5], v[8:9]
	v_fma_f64 v[2:3], v[4:5], v[10:11], -v[2:3]
	scratch_load_dwordx4 v[8:11], off, off offset:72 ; 16-byte Folded Reload
	v_mul_f64 v[0:1], v[0:1], s[0:1]
	v_mul_f64 v[2:3], v[2:3], s[0:1]
	v_lshl_add_u64 v[6:7], v[16:17], 0, s[2:3]
	global_store_dwordx4 v[6:7], v[0:3], off
	s_waitcnt vmcnt(1) lgkmcnt(0)
	s_nop 0
	v_mul_f64 v[0:1], v[10:11], v[14:15]
	v_fmac_f64_e32 v[0:1], v[8:9], v[12:13]
	v_mul_f64 v[2:3], v[0:1], s[0:1]
	v_mul_f64 v[0:1], v[10:11], v[12:13]
	v_fma_f64 v[0:1], v[8:9], v[14:15], -v[0:1]
	v_mul_f64 v[4:5], v[0:1], s[0:1]
	v_lshl_add_u64 v[0:1], v[6:7], 0, s[2:3]
	global_store_dwordx4 v[0:1], v[2:5], off
	s_and_b64 exec, exec, s[4:5]
	s_cbranch_execz .LBB0_31
; %bb.30:
	v_accvgpr_read_b32 v19, a1
	v_accvgpr_read_b32 v18, a0
	v_add_co_u32_e32 v2, vcc, 0x1000, v18
	v_lshl_add_u64 v[14:15], s[6:7], 4, v[0:1]
	s_nop 0
	v_addc_co_u32_e32 v3, vcc, 0, v19, vcc
	global_load_dwordx4 v[2:5], v[2:3], off offset:3968
	ds_read_b128 v[6:9], v128 offset:8064
	ds_read_b128 v[10:13], v128 offset:16464
	s_movk_i32 s4, 0x4000
	v_add_co_u32_e32 v16, vcc, s4, v18
	s_movk_i32 s4, 0x6000
	s_nop 0
	v_addc_co_u32_e32 v17, vcc, 0, v19, vcc
	s_waitcnt vmcnt(0) lgkmcnt(1)
	v_mul_f64 v[0:1], v[8:9], v[4:5]
	v_mul_f64 v[4:5], v[6:7], v[4:5]
	v_fmac_f64_e32 v[0:1], v[6:7], v[2:3]
	v_fma_f64 v[2:3], v[2:3], v[8:9], -v[4:5]
	v_mul_f64 v[0:1], v[0:1], s[0:1]
	v_mul_f64 v[2:3], v[2:3], s[0:1]
	global_store_dwordx4 v[14:15], v[0:3], off
	global_load_dwordx4 v[0:3], v[16:17], off offset:80
	v_lshl_add_u64 v[8:9], v[14:15], 0, s[2:3]
	v_add_co_u32_e32 v4, vcc, s4, v18
	s_waitcnt vmcnt(0) lgkmcnt(0)
	v_mul_f64 v[6:7], v[12:13], v[2:3]
	v_mul_f64 v[2:3], v[10:11], v[2:3]
	v_fmac_f64_e32 v[6:7], v[10:11], v[0:1]
	v_fma_f64 v[2:3], v[0:1], v[12:13], -v[2:3]
	v_mul_f64 v[0:1], v[6:7], s[0:1]
	v_mul_f64 v[2:3], v[2:3], s[0:1]
	v_addc_co_u32_e32 v5, vcc, 0, v19, vcc
	global_store_dwordx4 v[8:9], v[0:3], off
	global_load_dwordx4 v[0:3], v[4:5], off offset:288
	ds_read_b128 v[4:7], v128 offset:24864
	s_waitcnt vmcnt(0) lgkmcnt(0)
	v_mul_f64 v[10:11], v[6:7], v[2:3]
	v_mul_f64 v[2:3], v[4:5], v[2:3]
	v_fmac_f64_e32 v[10:11], v[4:5], v[0:1]
	v_fma_f64 v[2:3], v[0:1], v[6:7], -v[2:3]
	v_mul_f64 v[0:1], v[10:11], s[0:1]
	v_mul_f64 v[2:3], v[2:3], s[0:1]
	v_lshl_add_u64 v[4:5], v[8:9], 0, s[2:3]
	global_store_dwordx4 v[4:5], v[0:3], off
.LBB0_31:
	s_endpgm
	.section	.rodata,"a",@progbits
	.p2align	6, 0x0
	.amdhsa_kernel bluestein_single_back_len1575_dim1_dp_op_CI_CI
		.amdhsa_group_segment_fixed_size 25200
		.amdhsa_private_segment_fixed_size 396
		.amdhsa_kernarg_size 104
		.amdhsa_user_sgpr_count 2
		.amdhsa_user_sgpr_dispatch_ptr 0
		.amdhsa_user_sgpr_queue_ptr 0
		.amdhsa_user_sgpr_kernarg_segment_ptr 1
		.amdhsa_user_sgpr_dispatch_id 0
		.amdhsa_user_sgpr_kernarg_preload_length 0
		.amdhsa_user_sgpr_kernarg_preload_offset 0
		.amdhsa_user_sgpr_private_segment_size 0
		.amdhsa_uses_dynamic_stack 0
		.amdhsa_enable_private_segment 1
		.amdhsa_system_sgpr_workgroup_id_x 1
		.amdhsa_system_sgpr_workgroup_id_y 0
		.amdhsa_system_sgpr_workgroup_id_z 0
		.amdhsa_system_sgpr_workgroup_info 0
		.amdhsa_system_vgpr_workitem_id 0
		.amdhsa_next_free_vgpr 512
		.amdhsa_next_free_sgpr 36
		.amdhsa_accum_offset 256
		.amdhsa_reserve_vcc 1
		.amdhsa_float_round_mode_32 0
		.amdhsa_float_round_mode_16_64 0
		.amdhsa_float_denorm_mode_32 3
		.amdhsa_float_denorm_mode_16_64 3
		.amdhsa_dx10_clamp 1
		.amdhsa_ieee_mode 1
		.amdhsa_fp16_overflow 0
		.amdhsa_tg_split 0
		.amdhsa_exception_fp_ieee_invalid_op 0
		.amdhsa_exception_fp_denorm_src 0
		.amdhsa_exception_fp_ieee_div_zero 0
		.amdhsa_exception_fp_ieee_overflow 0
		.amdhsa_exception_fp_ieee_underflow 0
		.amdhsa_exception_fp_ieee_inexact 0
		.amdhsa_exception_int_div_zero 0
	.end_amdhsa_kernel
	.text
.Lfunc_end0:
	.size	bluestein_single_back_len1575_dim1_dp_op_CI_CI, .Lfunc_end0-bluestein_single_back_len1575_dim1_dp_op_CI_CI
                                        ; -- End function
	.section	.AMDGPU.csdata,"",@progbits
; Kernel info:
; codeLenInByte = 38564
; NumSgprs: 42
; NumVgprs: 256
; NumAgprs: 256
; TotalNumVgprs: 512
; ScratchSize: 396
; MemoryBound: 0
; FloatMode: 240
; IeeeMode: 1
; LDSByteSize: 25200 bytes/workgroup (compile time only)
; SGPRBlocks: 5
; VGPRBlocks: 63
; NumSGPRsForWavesPerEU: 42
; NumVGPRsForWavesPerEU: 512
; AccumOffset: 256
; Occupancy: 1
; WaveLimiterHint : 1
; COMPUTE_PGM_RSRC2:SCRATCH_EN: 1
; COMPUTE_PGM_RSRC2:USER_SGPR: 2
; COMPUTE_PGM_RSRC2:TRAP_HANDLER: 0
; COMPUTE_PGM_RSRC2:TGID_X_EN: 1
; COMPUTE_PGM_RSRC2:TGID_Y_EN: 0
; COMPUTE_PGM_RSRC2:TGID_Z_EN: 0
; COMPUTE_PGM_RSRC2:TIDIG_COMP_CNT: 0
; COMPUTE_PGM_RSRC3_GFX90A:ACCUM_OFFSET: 63
; COMPUTE_PGM_RSRC3_GFX90A:TG_SPLIT: 0
	.text
	.p2alignl 6, 3212836864
	.fill 256, 4, 3212836864
	.type	__hip_cuid_99127be804d5e31f,@object ; @__hip_cuid_99127be804d5e31f
	.section	.bss,"aw",@nobits
	.globl	__hip_cuid_99127be804d5e31f
__hip_cuid_99127be804d5e31f:
	.byte	0                               ; 0x0
	.size	__hip_cuid_99127be804d5e31f, 1

	.ident	"AMD clang version 19.0.0git (https://github.com/RadeonOpenCompute/llvm-project roc-6.4.0 25133 c7fe45cf4b819c5991fe208aaa96edf142730f1d)"
	.section	".note.GNU-stack","",@progbits
	.addrsig
	.addrsig_sym __hip_cuid_99127be804d5e31f
	.amdgpu_metadata
---
amdhsa.kernels:
  - .agpr_count:     256
    .args:
      - .actual_access:  read_only
        .address_space:  global
        .offset:         0
        .size:           8
        .value_kind:     global_buffer
      - .actual_access:  read_only
        .address_space:  global
        .offset:         8
        .size:           8
        .value_kind:     global_buffer
      - .actual_access:  read_only
        .address_space:  global
        .offset:         16
        .size:           8
        .value_kind:     global_buffer
      - .actual_access:  read_only
        .address_space:  global
        .offset:         24
        .size:           8
        .value_kind:     global_buffer
      - .actual_access:  read_only
        .address_space:  global
        .offset:         32
        .size:           8
        .value_kind:     global_buffer
      - .offset:         40
        .size:           8
        .value_kind:     by_value
      - .address_space:  global
        .offset:         48
        .size:           8
        .value_kind:     global_buffer
      - .address_space:  global
        .offset:         56
        .size:           8
        .value_kind:     global_buffer
      - .address_space:  global
        .offset:         64
        .size:           8
        .value_kind:     global_buffer
      - .address_space:  global
        .offset:         72
        .size:           8
        .value_kind:     global_buffer
      - .offset:         80
        .size:           4
        .value_kind:     by_value
      - .address_space:  global
        .offset:         88
        .size:           8
        .value_kind:     global_buffer
      - .address_space:  global
        .offset:         96
        .size:           8
        .value_kind:     global_buffer
    .group_segment_fixed_size: 25200
    .kernarg_segment_align: 8
    .kernarg_segment_size: 104
    .language:       OpenCL C
    .language_version:
      - 2
      - 0
    .max_flat_workgroup_size: 63
    .name:           bluestein_single_back_len1575_dim1_dp_op_CI_CI
    .private_segment_fixed_size: 396
    .sgpr_count:     42
    .sgpr_spill_count: 0
    .symbol:         bluestein_single_back_len1575_dim1_dp_op_CI_CI.kd
    .uniform_work_group_size: 1
    .uses_dynamic_stack: false
    .vgpr_count:     512
    .vgpr_spill_count: 98
    .wavefront_size: 64
amdhsa.target:   amdgcn-amd-amdhsa--gfx950
amdhsa.version:
  - 1
  - 2
...

	.end_amdgpu_metadata
